;; amdgpu-corpus repo=ROCm/rocFFT kind=compiled arch=gfx906 opt=O3
	.text
	.amdgcn_target "amdgcn-amd-amdhsa--gfx906"
	.amdhsa_code_object_version 6
	.protected	fft_rtc_fwd_len2160_factors_10_6_6_6_wgs_60_tpt_60_halfLds_half_op_CI_CI_unitstride_sbrr_dirReg ; -- Begin function fft_rtc_fwd_len2160_factors_10_6_6_6_wgs_60_tpt_60_halfLds_half_op_CI_CI_unitstride_sbrr_dirReg
	.globl	fft_rtc_fwd_len2160_factors_10_6_6_6_wgs_60_tpt_60_halfLds_half_op_CI_CI_unitstride_sbrr_dirReg
	.p2align	8
	.type	fft_rtc_fwd_len2160_factors_10_6_6_6_wgs_60_tpt_60_halfLds_half_op_CI_CI_unitstride_sbrr_dirReg,@function
fft_rtc_fwd_len2160_factors_10_6_6_6_wgs_60_tpt_60_halfLds_half_op_CI_CI_unitstride_sbrr_dirReg: ; @fft_rtc_fwd_len2160_factors_10_6_6_6_wgs_60_tpt_60_halfLds_half_op_CI_CI_unitstride_sbrr_dirReg
; %bb.0:
	s_load_dwordx4 s[8:11], s[4:5], 0x58
	s_load_dwordx4 s[12:15], s[4:5], 0x0
	;; [unrolled: 1-line block ×3, first 2 shown]
	v_mul_u32_u24_e32 v1, 0x445, v0
	v_add_u32_sdwa v10, s6, v1 dst_sel:DWORD dst_unused:UNUSED_PAD src0_sel:DWORD src1_sel:WORD_1
	v_mov_b32_e32 v8, 0
	s_waitcnt lgkmcnt(0)
	v_cmp_lt_u64_e64 s[0:1], s[14:15], 2
	v_mov_b32_e32 v1, 0
	v_mov_b32_e32 v11, v8
	s_and_b64 vcc, exec, s[0:1]
	v_mov_b32_e32 v2, 0
	s_cbranch_vccnz .LBB0_8
; %bb.1:
	s_load_dwordx2 s[0:1], s[4:5], 0x10
	s_add_u32 s2, s18, 8
	s_addc_u32 s3, s19, 0
	s_add_u32 s6, s16, 8
	v_mov_b32_e32 v1, 0
	s_addc_u32 s7, s17, 0
	v_mov_b32_e32 v2, 0
	s_waitcnt lgkmcnt(0)
	s_add_u32 s20, s0, 8
	v_mov_b32_e32 v5, v2
	s_addc_u32 s21, s1, 0
	s_mov_b64 s[22:23], 1
	v_mov_b32_e32 v4, v1
.LBB0_2:                                ; =>This Inner Loop Header: Depth=1
	s_load_dwordx2 s[24:25], s[20:21], 0x0
                                        ; implicit-def: $vgpr6_vgpr7
	s_waitcnt lgkmcnt(0)
	v_or_b32_e32 v9, s25, v11
	v_cmp_ne_u64_e32 vcc, 0, v[8:9]
	s_and_saveexec_b64 s[0:1], vcc
	s_xor_b64 s[26:27], exec, s[0:1]
	s_cbranch_execz .LBB0_4
; %bb.3:                                ;   in Loop: Header=BB0_2 Depth=1
	v_cvt_f32_u32_e32 v3, s24
	v_cvt_f32_u32_e32 v6, s25
	s_sub_u32 s0, 0, s24
	s_subb_u32 s1, 0, s25
	v_mac_f32_e32 v3, 0x4f800000, v6
	v_rcp_f32_e32 v3, v3
	v_mul_f32_e32 v3, 0x5f7ffffc, v3
	v_mul_f32_e32 v6, 0x2f800000, v3
	v_trunc_f32_e32 v6, v6
	v_mac_f32_e32 v3, 0xcf800000, v6
	v_cvt_u32_f32_e32 v6, v6
	v_cvt_u32_f32_e32 v3, v3
	v_mul_lo_u32 v7, s0, v6
	v_mul_hi_u32 v9, s0, v3
	v_mul_lo_u32 v13, s1, v3
	v_mul_lo_u32 v12, s0, v3
	v_add_u32_e32 v7, v9, v7
	v_add_u32_e32 v7, v7, v13
	v_mul_hi_u32 v9, v3, v12
	v_mul_lo_u32 v13, v3, v7
	v_mul_hi_u32 v15, v3, v7
	v_mul_hi_u32 v14, v6, v12
	v_mul_lo_u32 v12, v6, v12
	v_mul_hi_u32 v16, v6, v7
	v_add_co_u32_e32 v9, vcc, v9, v13
	v_addc_co_u32_e32 v13, vcc, 0, v15, vcc
	v_mul_lo_u32 v7, v6, v7
	v_add_co_u32_e32 v9, vcc, v9, v12
	v_addc_co_u32_e32 v9, vcc, v13, v14, vcc
	v_addc_co_u32_e32 v12, vcc, 0, v16, vcc
	v_add_co_u32_e32 v7, vcc, v9, v7
	v_addc_co_u32_e32 v9, vcc, 0, v12, vcc
	v_add_co_u32_e32 v3, vcc, v3, v7
	v_addc_co_u32_e32 v6, vcc, v6, v9, vcc
	v_mul_lo_u32 v7, s0, v6
	v_mul_hi_u32 v9, s0, v3
	v_mul_lo_u32 v12, s1, v3
	v_mul_lo_u32 v13, s0, v3
	v_add_u32_e32 v7, v9, v7
	v_add_u32_e32 v7, v7, v12
	v_mul_lo_u32 v14, v3, v7
	v_mul_hi_u32 v15, v3, v13
	v_mul_hi_u32 v16, v3, v7
	v_mul_hi_u32 v12, v6, v13
	v_mul_lo_u32 v13, v6, v13
	v_mul_hi_u32 v9, v6, v7
	v_add_co_u32_e32 v14, vcc, v15, v14
	v_addc_co_u32_e32 v15, vcc, 0, v16, vcc
	v_mul_lo_u32 v7, v6, v7
	v_add_co_u32_e32 v13, vcc, v14, v13
	v_addc_co_u32_e32 v12, vcc, v15, v12, vcc
	v_addc_co_u32_e32 v9, vcc, 0, v9, vcc
	v_add_co_u32_e32 v7, vcc, v12, v7
	v_addc_co_u32_e32 v9, vcc, 0, v9, vcc
	v_add_co_u32_e32 v3, vcc, v3, v7
	v_addc_co_u32_e32 v9, vcc, v6, v9, vcc
	v_mad_u64_u32 v[6:7], s[0:1], v10, v9, 0
	v_mul_hi_u32 v12, v10, v3
	v_add_co_u32_e32 v14, vcc, v12, v6
	v_addc_co_u32_e32 v15, vcc, 0, v7, vcc
	v_mad_u64_u32 v[6:7], s[0:1], v11, v3, 0
	v_mad_u64_u32 v[12:13], s[0:1], v11, v9, 0
	v_add_co_u32_e32 v3, vcc, v14, v6
	v_addc_co_u32_e32 v3, vcc, v15, v7, vcc
	v_addc_co_u32_e32 v6, vcc, 0, v13, vcc
	v_add_co_u32_e32 v3, vcc, v3, v12
	v_addc_co_u32_e32 v9, vcc, 0, v6, vcc
	v_mul_lo_u32 v12, s25, v3
	v_mul_lo_u32 v13, s24, v9
	v_mad_u64_u32 v[6:7], s[0:1], s24, v3, 0
	v_add3_u32 v7, v7, v13, v12
	v_sub_u32_e32 v12, v11, v7
	v_mov_b32_e32 v13, s25
	v_sub_co_u32_e32 v6, vcc, v10, v6
	v_subb_co_u32_e64 v12, s[0:1], v12, v13, vcc
	v_subrev_co_u32_e64 v13, s[0:1], s24, v6
	v_subbrev_co_u32_e64 v12, s[0:1], 0, v12, s[0:1]
	v_cmp_le_u32_e64 s[0:1], s25, v12
	v_cndmask_b32_e64 v14, 0, -1, s[0:1]
	v_cmp_le_u32_e64 s[0:1], s24, v13
	v_cndmask_b32_e64 v13, 0, -1, s[0:1]
	v_cmp_eq_u32_e64 s[0:1], s25, v12
	v_cndmask_b32_e64 v12, v14, v13, s[0:1]
	v_add_co_u32_e64 v13, s[0:1], 2, v3
	v_addc_co_u32_e64 v14, s[0:1], 0, v9, s[0:1]
	v_add_co_u32_e64 v15, s[0:1], 1, v3
	v_addc_co_u32_e64 v16, s[0:1], 0, v9, s[0:1]
	v_subb_co_u32_e32 v7, vcc, v11, v7, vcc
	v_cmp_ne_u32_e64 s[0:1], 0, v12
	v_cmp_le_u32_e32 vcc, s25, v7
	v_cndmask_b32_e64 v12, v16, v14, s[0:1]
	v_cndmask_b32_e64 v14, 0, -1, vcc
	v_cmp_le_u32_e32 vcc, s24, v6
	v_cndmask_b32_e64 v6, 0, -1, vcc
	v_cmp_eq_u32_e32 vcc, s25, v7
	v_cndmask_b32_e32 v6, v14, v6, vcc
	v_cmp_ne_u32_e32 vcc, 0, v6
	v_cndmask_b32_e64 v6, v15, v13, s[0:1]
	v_cndmask_b32_e32 v7, v9, v12, vcc
	v_cndmask_b32_e32 v6, v3, v6, vcc
.LBB0_4:                                ;   in Loop: Header=BB0_2 Depth=1
	s_andn2_saveexec_b64 s[0:1], s[26:27]
	s_cbranch_execz .LBB0_6
; %bb.5:                                ;   in Loop: Header=BB0_2 Depth=1
	v_cvt_f32_u32_e32 v3, s24
	s_sub_i32 s26, 0, s24
	v_rcp_iflag_f32_e32 v3, v3
	v_mul_f32_e32 v3, 0x4f7ffffe, v3
	v_cvt_u32_f32_e32 v3, v3
	v_mul_lo_u32 v6, s26, v3
	v_mul_hi_u32 v6, v3, v6
	v_add_u32_e32 v3, v3, v6
	v_mul_hi_u32 v3, v10, v3
	v_mul_lo_u32 v6, v3, s24
	v_add_u32_e32 v7, 1, v3
	v_sub_u32_e32 v6, v10, v6
	v_subrev_u32_e32 v9, s24, v6
	v_cmp_le_u32_e32 vcc, s24, v6
	v_cndmask_b32_e32 v6, v6, v9, vcc
	v_cndmask_b32_e32 v3, v3, v7, vcc
	v_add_u32_e32 v7, 1, v3
	v_cmp_le_u32_e32 vcc, s24, v6
	v_cndmask_b32_e32 v6, v3, v7, vcc
	v_mov_b32_e32 v7, v8
.LBB0_6:                                ;   in Loop: Header=BB0_2 Depth=1
	s_or_b64 exec, exec, s[0:1]
	v_mul_lo_u32 v3, v7, s24
	v_mul_lo_u32 v9, v6, s25
	v_mad_u64_u32 v[12:13], s[0:1], v6, s24, 0
	s_load_dwordx2 s[0:1], s[6:7], 0x0
	s_load_dwordx2 s[24:25], s[2:3], 0x0
	v_add3_u32 v3, v13, v9, v3
	v_sub_co_u32_e32 v9, vcc, v10, v12
	v_subb_co_u32_e32 v3, vcc, v11, v3, vcc
	s_waitcnt lgkmcnt(0)
	v_mul_lo_u32 v10, s0, v3
	v_mul_lo_u32 v11, s1, v9
	v_mad_u64_u32 v[1:2], s[0:1], s0, v9, v[1:2]
	s_add_u32 s22, s22, 1
	s_addc_u32 s23, s23, 0
	s_add_u32 s2, s2, 8
	v_mul_lo_u32 v3, s24, v3
	v_mul_lo_u32 v12, s25, v9
	v_mad_u64_u32 v[4:5], s[0:1], s24, v9, v[4:5]
	v_add3_u32 v2, v11, v2, v10
	s_addc_u32 s3, s3, 0
	v_mov_b32_e32 v9, s14
	s_add_u32 s6, s6, 8
	v_mov_b32_e32 v10, s15
	s_addc_u32 s7, s7, 0
	v_cmp_ge_u64_e32 vcc, s[22:23], v[9:10]
	s_add_u32 s20, s20, 8
	v_add3_u32 v5, v12, v5, v3
	s_addc_u32 s21, s21, 0
	s_cbranch_vccnz .LBB0_9
; %bb.7:                                ;   in Loop: Header=BB0_2 Depth=1
	v_mov_b32_e32 v11, v7
	v_mov_b32_e32 v10, v6
	s_branch .LBB0_2
.LBB0_8:
	v_mov_b32_e32 v5, v2
	v_mov_b32_e32 v6, v10
	;; [unrolled: 1-line block ×4, first 2 shown]
.LBB0_9:
	s_load_dwordx2 s[4:5], s[4:5], 0x28
	s_lshl_b64 s[6:7], s[14:15], 3
	s_add_u32 s2, s18, s6
	s_addc_u32 s3, s19, s7
                                        ; implicit-def: $vgpr10
	s_waitcnt lgkmcnt(0)
	v_cmp_gt_u64_e64 s[0:1], s[4:5], v[6:7]
	v_cmp_le_u64_e32 vcc, s[4:5], v[6:7]
	s_and_saveexec_b64 s[4:5], vcc
	s_xor_b64 s[4:5], exec, s[4:5]
; %bb.10:
	s_mov_b32 s14, 0x4444445
	v_mul_hi_u32 v1, v0, s14
	v_mul_u32_u24_e32 v1, 60, v1
	v_sub_u32_e32 v10, v0, v1
                                        ; implicit-def: $vgpr0
                                        ; implicit-def: $vgpr1_vgpr2
; %bb.11:
	s_or_saveexec_b64 s[4:5], s[4:5]
	s_load_dwordx2 s[2:3], s[2:3], 0x0
                                        ; implicit-def: $vgpr13
                                        ; implicit-def: $vgpr20
                                        ; implicit-def: $vgpr9
                                        ; implicit-def: $vgpr3
                                        ; implicit-def: $vgpr12
                                        ; implicit-def: $vgpr14
                                        ; implicit-def: $vgpr8
                                        ; implicit-def: $vgpr17
                                        ; implicit-def: $vgpr15
                                        ; implicit-def: $vgpr50
                                        ; implicit-def: $vgpr44
                                        ; implicit-def: $vgpr24
                                        ; implicit-def: $vgpr45
                                        ; implicit-def: $vgpr22
                                        ; implicit-def: $vgpr47
                                        ; implicit-def: $vgpr11
                                        ; implicit-def: $vgpr48
                                        ; implicit-def: $vgpr23
                                        ; implicit-def: $vgpr49
                                        ; implicit-def: $vgpr62
                                        ; implicit-def: $vgpr51
                                        ; implicit-def: $vgpr29
                                        ; implicit-def: $vgpr52
                                        ; implicit-def: $vgpr28
                                        ; implicit-def: $vgpr53
                                        ; implicit-def: $vgpr30
                                        ; implicit-def: $vgpr54
                                        ; implicit-def: $vgpr31
                                        ; implicit-def: $vgpr55
                                        ; implicit-def: $vgpr65
                                        ; implicit-def: $vgpr57
                                        ; implicit-def: $vgpr37
                                        ; implicit-def: $vgpr58
                                        ; implicit-def: $vgpr46
                                        ; implicit-def: $vgpr59
                                        ; implicit-def: $vgpr43
                                        ; implicit-def: $vgpr60
                                        ; implicit-def: $vgpr41
                                        ; implicit-def: $vgpr61
                                        ; implicit-def: $vgpr64
                                        ; implicit-def: $vgpr16
                                        ; implicit-def: $vgpr21
                                        ; implicit-def: $vgpr18
                                        ; implicit-def: $vgpr19
                                        ; implicit-def: $vgpr56
                                        ; implicit-def: $vgpr40
                                        ; implicit-def: $vgpr42
                                        ; implicit-def: $vgpr38
                                        ; implicit-def: $vgpr39
                                        ; implicit-def: $vgpr67
                                        ; implicit-def: $vgpr36
                                        ; implicit-def: $vgpr35
                                        ; implicit-def: $vgpr33
                                        ; implicit-def: $vgpr34
                                        ; implicit-def: $vgpr70
                                        ; implicit-def: $vgpr26
                                        ; implicit-def: $vgpr25
                                        ; implicit-def: $vgpr32
                                        ; implicit-def: $vgpr27
                                        ; implicit-def: $vgpr63
	s_xor_b64 exec, exec, s[4:5]
	s_cbranch_execz .LBB0_15
; %bb.12:
	s_add_u32 s6, s16, s6
	s_addc_u32 s7, s17, s7
	s_load_dwordx2 s[6:7], s[6:7], 0x0
	s_mov_b32 s14, 0x4444445
	v_mul_hi_u32 v3, v0, s14
                                        ; implicit-def: $vgpr56
                                        ; implicit-def: $vgpr19
                                        ; implicit-def: $vgpr18
                                        ; implicit-def: $vgpr21
                                        ; implicit-def: $vgpr16
                                        ; implicit-def: $vgpr50
                                        ; implicit-def: $vgpr15
                                        ; implicit-def: $vgpr17
                                        ; implicit-def: $vgpr14
                                        ; implicit-def: $vgpr20
	s_waitcnt lgkmcnt(0)
	v_mul_lo_u32 v11, s7, v6
	v_mul_lo_u32 v12, s6, v7
	v_mad_u64_u32 v[8:9], s[6:7], s6, v6, 0
	v_mul_u32_u24_e32 v3, 60, v3
	v_sub_u32_e32 v10, v0, v3
	v_add3_u32 v9, v9, v12, v11
	v_lshlrev_b64 v[8:9], 2, v[8:9]
	v_mov_b32_e32 v0, s9
	v_add_co_u32_e32 v3, vcc, s8, v8
	v_addc_co_u32_e32 v8, vcc, v0, v9, vcc
	v_lshlrev_b64 v[0:1], 2, v[1:2]
	s_movk_i32 s6, 0x1000
	v_add_co_u32_e32 v9, vcc, v3, v0
	v_addc_co_u32_e32 v11, vcc, v8, v1, vcc
	v_lshlrev_b32_e32 v8, 2, v10
	v_add_co_u32_e32 v0, vcc, v9, v8
	v_addc_co_u32_e32 v1, vcc, 0, v11, vcc
	v_add_co_u32_e32 v2, vcc, s6, v0
	v_addc_co_u32_e32 v3, vcc, 0, v1, vcc
	v_or_b32_e32 v8, 0x1b00, v8
	v_add_co_u32_e32 v8, vcc, v9, v8
	v_addc_co_u32_e32 v9, vcc, 0, v11, vcc
	v_add_co_u32_e32 v12, vcc, 0x2000, v0
	v_addc_co_u32_e32 v13, vcc, 0, v1, vcc
	global_load_dword v64, v[0:1], off
	global_load_dword v65, v[0:1], off offset:240
	global_load_dword v31, v[0:1], off offset:1968
	;; [unrolled: 1-line block ×9, first 2 shown]
	global_load_dword v37, v[8:9], off
	global_load_dword v35, v[2:3], off offset:3920
	global_load_dword v41, v[0:1], off offset:1728
	;; [unrolled: 1-line block ×13, first 2 shown]
                                        ; kill: killed $vgpr12 killed $vgpr13
                                        ; kill: killed $vgpr8 killed $vgpr9
	global_load_dword v40, v[2:3], off offset:1952
	global_load_dword v22, v[2:3], off offset:1568
	;; [unrolled: 1-line block ×6, first 2 shown]
	v_cmp_gt_u32_e32 vcc, 36, v10
                                        ; implicit-def: $vgpr8
                                        ; implicit-def: $vgpr12
                                        ; implicit-def: $vgpr3
                                        ; implicit-def: $vgpr9
                                        ; implicit-def: $vgpr13
	s_and_saveexec_b64 s[6:7], vcc
	s_cbranch_execz .LBB0_14
; %bb.13:
	v_add_co_u32_e32 v8, vcc, 0x1000, v0
	v_addc_co_u32_e32 v9, vcc, 0, v1, vcc
	global_load_dword v50, v[0:1], off offset:720
	global_load_dword v16, v[8:9], off offset:2672
	;; [unrolled: 1-line block ×8, first 2 shown]
	v_add_co_u32_e32 v0, vcc, 0x2000, v0
	v_addc_co_u32_e32 v1, vcc, 0, v1, vcc
	global_load_dword v20, v[8:9], off offset:3536
	global_load_dword v21, v[0:1], off offset:304
	s_waitcnt vmcnt(7)
	v_lshrrev_b32_e32 v9, 16, v3
	s_waitcnt vmcnt(5)
	v_lshrrev_b32_e32 v12, 16, v14
	v_lshrrev_b32_e32 v15, 16, v50
	s_waitcnt vmcnt(3)
	v_lshrrev_b32_e32 v8, 16, v17
	s_waitcnt vmcnt(1)
	v_lshrrev_b32_e32 v13, 16, v20
.LBB0_14:
	s_or_b64 exec, exec, s[6:7]
	s_waitcnt vmcnt(29)
	v_lshrrev_b32_e32 v61, 16, v64
	s_waitcnt vmcnt(17)
	v_lshrrev_b32_e32 v60, 16, v41
	;; [unrolled: 2-line block ×4, first 2 shown]
	v_lshrrev_b32_e32 v57, 16, v37
	v_lshrrev_b32_e32 v55, 16, v65
	;; [unrolled: 1-line block ×11, first 2 shown]
.LBB0_15:
	s_or_b64 exec, exec, s[4:5]
	v_add_f16_e32 v0, v41, v64
	v_add_f16_e32 v0, v43, v0
	;; [unrolled: 1-line block ×5, first 2 shown]
	v_fma_f16 v0, v0, -0.5, v64
	v_sub_f16_e32 v1, v60, v57
	s_movk_i32 s8, 0x3b9c
	s_mov_b32 s9, 0xbb9c
	v_fma_f16 v2, v1, s8, v0
	v_sub_f16_e32 v66, v59, v58
	v_sub_f16_e32 v68, v41, v43
	;; [unrolled: 1-line block ×3, first 2 shown]
	v_fma_f16 v0, v1, s9, v0
	s_mov_b32 s6, 0xb8b4
	v_add_f16_e32 v68, v71, v68
	s_movk_i32 s14, 0x34f2
	v_fma_f16 v0, v66, s6, v0
	s_movk_i32 s7, 0x38b4
	v_fma_f16 v78, v68, s14, v0
	v_add_f16_e32 v0, v37, v41
	v_fma_f16 v2, v66, s7, v2
	v_fma_f16 v0, v0, -0.5, v64
	v_fma_f16 v71, v68, s14, v2
	v_fma_f16 v2, v66, s9, v0
	v_sub_f16_e32 v64, v43, v41
	v_sub_f16_e32 v68, v46, v37
	v_fma_f16 v0, v66, s8, v0
	v_add_f16_e32 v64, v68, v64
	v_fma_f16 v0, v1, s6, v0
	v_fma_f16 v79, v64, s14, v0
	v_add_f16_e32 v0, v39, v67
	v_fma_f16 v2, v1, s7, v2
	v_add_f16_e32 v0, v38, v0
	;; [unrolled: 2-line block ×3, first 2 shown]
	v_pk_add_f16 v64, v39, v38 neg_lo:[0,1] neg_hi:[0,1]
	v_pk_add_f16 v66, v42, v40 neg_lo:[0,1] neg_hi:[0,1]
	v_add_f16_e32 v73, v42, v0
	v_add_f16_e32 v0, v40, v38
	v_pk_add_f16 v68, v39, v42 neg_lo:[0,1] neg_hi:[0,1]
	v_pk_add_f16 v74, v38, v40 neg_lo:[0,1] neg_hi:[0,1]
	v_pk_add_f16 v64, v66, v64
	s_mov_b32 s15, 0xffff
	v_fma_f16 v0, v0, -0.5, v67
	v_lshrrev_b32_e32 v2, 16, v68
	v_bfi_b32 v64, s15, v64, v74
	s_mov_b32 s4, 0x38b434f2
	v_fma_f16 v1, v2, s8, v0
	v_pk_mul_f16 v64, v64, s4
	v_fma_f16 v0, v2, s9, v0
	v_add_f16_sdwa v1, v64, v1 dst_sel:DWORD dst_unused:UNUSED_PAD src0_sel:WORD_1 src1_sel:DWORD
	v_sub_f16_sdwa v0, v0, v64 dst_sel:DWORD dst_unused:UNUSED_PAD src0_sel:DWORD src1_sel:WORD_1
	v_add_f16_e32 v1, v64, v1
	v_add_f16_e32 v0, v64, v0
	v_lshrrev_b32_e32 v64, 16, v67
	v_add_f16_sdwa v2, v40, v38 dst_sel:DWORD dst_unused:UNUSED_PAD src0_sel:WORD_1 src1_sel:WORD_1
	v_fma_f16 v2, v2, -0.5, v64
	v_pk_add_f16 v75, v42, v39
	v_fma_f16 v66, v68, s9, v2
	v_fma_f16 v2, v68, s8, v2
	v_fma_f16 v66, v74, s6, v66
	v_fma_f16 v2, v74, s7, v2
	v_pk_fma_f16 v75, v75, 0.5, v67 op_sel_hi:[1,0,1] neg_lo:[1,0,0] neg_hi:[1,0,0]
	v_pk_mul_f16 v74, v74, s8 op_sel_hi:[1,0]
	v_pk_add_f16 v76, v38, v39 neg_lo:[0,1] neg_hi:[0,1]
	v_pk_add_f16 v77, v40, v42 neg_lo:[0,1] neg_hi:[0,1]
	v_sub_f16_sdwa v80, v39, v38 dst_sel:DWORD dst_unused:UNUSED_PAD src0_sel:WORD_1 src1_sel:WORD_1
	v_sub_f16_sdwa v81, v42, v40 dst_sel:DWORD dst_unused:UNUSED_PAD src0_sel:WORD_1 src1_sel:WORD_1
	v_pk_add_f16 v67, v74, v75 op_sel:[1,0] op_sel_hi:[0,1]
	v_pk_mul_f16 v68, v68, s7 op_sel_hi:[1,0]
	v_pk_add_f16 v74, v75, v74 op_sel:[0,1] op_sel_hi:[1,0] neg_lo:[0,1] neg_hi:[0,1]
	v_add_f16_e32 v80, v81, v80
	v_pk_add_f16 v67, v67, v68 op_sel:[0,1] op_sel_hi:[1,0] neg_lo:[0,1] neg_hi:[0,1]
	v_pk_add_f16 v76, v77, v76
	v_pk_add_f16 v68, v68, v74 op_sel:[1,0] op_sel_hi:[0,1]
	v_fma_f16 v66, v80, s14, v66
	v_fma_f16 v2, v80, s14, v2
	v_mul_f16_e32 v80, 0x3a79, v1
	v_pk_fma_f16 v67, v76, s14, v67 op_sel_hi:[1,0,1]
	v_pk_fma_f16 v68, v76, s14, v68 op_sel_hi:[1,0,1]
	v_add_f16_e32 v82, v73, v69
	v_fma_f16 v81, v66, s7, v80
	v_mul_f16_e32 v74, 0x34f2, v68
	v_lshrrev_b32_e32 v75, 16, v67
	v_sub_f16_e32 v84, v69, v73
	v_add_f16_e32 v69, v28, v30
	v_add_f16_e32 v83, v71, v81
	v_fma_f16 v74, v75, s8, v74
	v_mul_f16_e32 v75, 0x34f2, v67
	v_lshrrev_b32_e32 v76, 16, v68
	v_sub_f16_e32 v85, v71, v81
	v_fma_f16 v69, v69, -0.5, v65
	v_sub_f16_e32 v71, v54, v51
	v_add_f16_e32 v77, v72, v74
	v_fma_f16 v80, v76, s8, -v75
	v_sub_f16_e32 v86, v72, v74
	v_fma_f16 v72, v71, s8, v69
	v_sub_f16_e32 v73, v53, v52
	v_sub_f16_e32 v74, v31, v30
	v_sub_f16_e32 v75, v29, v28
	v_fma_f16 v69, v71, s9, v69
	v_add_f16_e32 v74, v75, v74
	v_fma_f16 v69, v73, s6, v69
	v_fma_f16 v81, v74, s14, v69
	v_add_f16_e32 v69, v29, v31
	v_fma_f16 v72, v73, s7, v72
	v_fma_f16 v69, v69, -0.5, v65
	v_fma_f16 v87, v74, s14, v72
	v_fma_f16 v72, v73, s9, v69
	v_sub_f16_e32 v74, v30, v31
	v_sub_f16_e32 v75, v28, v29
	v_fma_f16 v69, v73, s8, v69
	v_fma_f16 v72, v71, s7, v72
	v_add_f16_e32 v74, v75, v74
	v_fma_f16 v69, v71, s6, v69
	v_fma_f16 v88, v74, s14, v72
	;; [unrolled: 1-line block ×3, first 2 shown]
	v_pk_add_f16 v73, v34, v33 neg_lo:[0,1] neg_hi:[0,1]
	v_pk_add_f16 v74, v35, v36 neg_lo:[0,1] neg_hi:[0,1]
	v_add_f16_e32 v69, v36, v33
	v_pk_add_f16 v75, v34, v35 neg_lo:[0,1] neg_hi:[0,1]
	v_pk_add_f16 v76, v33, v36 neg_lo:[0,1] neg_hi:[0,1]
	v_pk_add_f16 v73, v74, v73
	v_fma_f16 v69, v69, -0.5, v70
	v_lshrrev_b32_e32 v72, 16, v75
	v_bfi_b32 v73, s15, v73, v76
	v_fma_f16 v71, v72, s8, v69
	v_pk_mul_f16 v73, v73, s4
	v_fma_f16 v69, v72, s9, v69
	v_add_f16_sdwa v71, v73, v71 dst_sel:DWORD dst_unused:UNUSED_PAD src0_sel:WORD_1 src1_sel:DWORD
	v_sub_f16_sdwa v69, v69, v73 dst_sel:DWORD dst_unused:UNUSED_PAD src0_sel:DWORD src1_sel:WORD_1
	v_add_f16_e32 v71, v73, v71
	v_add_f16_e32 v69, v73, v69
	v_sub_f16_sdwa v73, v34, v33 dst_sel:DWORD dst_unused:UNUSED_PAD src0_sel:WORD_1 src1_sel:WORD_1
	v_sub_f16_sdwa v74, v35, v36 dst_sel:DWORD dst_unused:UNUSED_PAD src0_sel:WORD_1 src1_sel:WORD_1
	v_lshrrev_b32_e32 v72, 16, v70
	v_add_f16_e32 v73, v74, v73
	v_add_f16_sdwa v74, v36, v33 dst_sel:DWORD dst_unused:UNUSED_PAD src0_sel:WORD_1 src1_sel:WORD_1
	v_fma_f16 v89, v74, -0.5, v72
	v_fma_f16 v74, v75, s9, v89
	v_fma_f16 v89, v75, s8, v89
	;; [unrolled: 1-line block ×6, first 2 shown]
	v_pk_add_f16 v89, v33, v34 neg_lo:[0,1] neg_hi:[0,1]
	v_pk_add_f16 v90, v36, v35 neg_lo:[0,1] neg_hi:[0,1]
	v_pk_add_f16 v89, v90, v89
	v_pk_add_f16 v90, v35, v34
	v_pk_fma_f16 v90, v90, 0.5, v70 op_sel_hi:[1,0,1] neg_lo:[1,0,0] neg_hi:[1,0,0]
	v_pk_mul_f16 v76, v76, s8 op_sel_hi:[1,0]
	v_pk_add_f16 v91, v76, v90 op_sel:[1,0] op_sel_hi:[0,1]
	v_pk_add_f16 v76, v90, v76 op_sel:[0,1] op_sel_hi:[1,0] neg_lo:[0,1] neg_hi:[0,1]
	v_pk_mul_f16 v75, v75, s7 op_sel_hi:[1,0]
	v_pk_add_f16 v90, v91, v75 op_sel:[0,1] op_sel_hi:[1,0] neg_lo:[0,1] neg_hi:[0,1]
	v_pk_add_f16 v76, v75, v76 op_sel:[1,0] op_sel_hi:[0,1]
	v_pk_fma_f16 v75, v89, s14, v90 op_sel_hi:[1,0,1]
	v_pk_fma_f16 v76, v89, s14, v76 op_sel_hi:[1,0,1]
	v_add_f16_e32 v89, v79, v80
	v_pack_b32_f16 v89, v77, v89
	v_mul_u32_u24_e32 v77, 10, v10
	v_pack_b32_f16 v82, v82, v83
	v_lshl_add_u32 v77, v77, 1, 0
	ds_write2_b32 v77, v82, v89 offset1:1
	v_mul_f16_e32 v82, 0x34f2, v76
	v_lshrrev_b32_e32 v83, 16, v75
	v_fma_f16 v82, v83, s8, v82
	v_mul_f16_e32 v83, 0x3a79, v0
	v_fma_f16 v93, v2, s7, -v83
	v_pack_b32_f16 v83, v85, v86
	v_add_f16_e32 v85, v78, v93
	v_add_f16_e32 v65, v31, v65
	v_add_f16_e32 v70, v34, v70
	v_pack_b32_f16 v84, v85, v84
	v_add_f16_e32 v65, v30, v65
	v_add_f16_e32 v70, v33, v70
	ds_write2_b32 v77, v84, v83 offset0:2 offset1:3
	v_mul_f16_e32 v83, 0x34f2, v75
	v_lshrrev_b32_e32 v84, 16, v76
	v_add_f16_e32 v65, v28, v65
	v_add_f16_e32 v70, v36, v70
	v_fma_f16 v84, v84, s8, -v83
	v_mul_f16_e32 v83, 0x3a79, v71
	v_add_f16_e32 v65, v29, v65
	v_add_f16_e32 v70, v35, v70
	v_fma_f16 v83, v74, s7, v83
	v_add_f16_e32 v85, v70, v65
	v_sub_f16_e32 v70, v65, v70
	v_add_f16_e32 v65, v87, v83
	v_sub_f16_e32 v83, v87, v83
	v_add_f16_e32 v86, v88, v82
	v_add_f16_e32 v87, v92, v84
	v_pack_b32_f16 v86, v86, v87
	v_mul_f16_e32 v87, 0x3a79, v69
	v_pack_b32_f16 v85, v85, v65
	v_add_u32_e32 v65, 0x4b0, v77
	v_fma_f16 v94, v73, s7, -v87
	ds_write2_b32 v65, v85, v86 offset1:1
	v_sub_f16_e32 v85, v23, v11
	v_sub_f16_e32 v86, v24, v22
	;; [unrolled: 1-line block ×3, first 2 shown]
	v_add_f16_e32 v85, v86, v85
	v_add_f16_e32 v86, v81, v94
	v_pack_b32_f16 v82, v83, v82
	v_pack_b32_f16 v83, v86, v70
	v_add_u32_e32 v70, 0x4b8, v77
	ds_write2_b32 v70, v83, v82 offset1:1
	v_sub_f16_e32 v82, v11, v23
	v_sub_f16_e32 v83, v22, v24
	v_add_f16_e32 v82, v83, v82
	v_add_f16_e32 v83, v24, v23
	v_sub_f16_e32 v90, v47, v45
	v_fma_f16 v83, v83, -0.5, v62
	v_fma_f16 v86, v90, s9, v83
	v_fma_f16 v83, v90, s8, v83
	v_sub_f16_e32 v91, v48, v44
	v_fma_f16 v86, v91, s7, v86
	v_fma_f16 v83, v91, s6, v83
	;; [unrolled: 1-line block ×4, first 2 shown]
	s_waitcnt vmcnt(0)
	v_pk_add_f16 v82, v27, v32 neg_lo:[0,1] neg_hi:[0,1]
	v_pk_add_f16 v83, v25, v26 neg_lo:[0,1] neg_hi:[0,1]
	v_pk_add_f16 v87, v83, v82
	v_sub_f16_sdwa v82, v27, v32 dst_sel:DWORD dst_unused:UNUSED_PAD src0_sel:WORD_1 src1_sel:WORD_1
	v_sub_f16_sdwa v83, v25, v26 dst_sel:DWORD dst_unused:UNUSED_PAD src0_sel:WORD_1 src1_sel:WORD_1
	v_add_f16_e32 v96, v83, v82
	v_pk_add_f16 v82, v32, v27 neg_lo:[0,1] neg_hi:[0,1]
	v_pk_add_f16 v83, v26, v25 neg_lo:[0,1] neg_hi:[0,1]
	v_pk_add_f16 v83, v83, v82
	v_pk_add_f16 v82, v25, v27
	v_pk_add_f16 v97, v32, v26 neg_lo:[0,1] neg_hi:[0,1]
	v_pk_fma_f16 v82, v82, 0.5, v63 op_sel_hi:[1,0,1] neg_lo:[1,0,0] neg_hi:[1,0,0]
	v_pk_mul_f16 v88, v97, s8 op_sel_hi:[1,0]
	v_pk_add_f16 v98, v27, v25 neg_lo:[0,1] neg_hi:[0,1]
	v_pk_add_f16 v89, v88, v82 op_sel:[1,0] op_sel_hi:[0,1]
	v_pk_add_f16 v82, v82, v88 op_sel:[0,1] op_sel_hi:[1,0] neg_lo:[0,1] neg_hi:[0,1]
	v_pk_mul_f16 v88, v98, s7 op_sel_hi:[1,0]
	v_pk_add_f16 v89, v89, v88 op_sel:[0,1] op_sel_hi:[1,0] neg_lo:[0,1] neg_hi:[0,1]
	v_pk_add_f16 v88, v88, v82 op_sel:[1,0] op_sel_hi:[0,1]
	v_pk_fma_f16 v82, v83, s14, v89 op_sel_hi:[1,0,1]
	v_pk_fma_f16 v83, v83, s14, v88 op_sel_hi:[1,0,1]
	v_mul_f16_e32 v88, 0x34f2, v83
	v_lshrrev_b32_e32 v89, 16, v82
	v_fma_f16 v99, v89, s8, v88
	v_mul_f16_e32 v88, 0x34f2, v82
	v_lshrrev_b32_e32 v89, 16, v83
	v_fma_f16 v100, v89, s8, -v88
	v_add_f16_e32 v88, v86, v99
	v_add_f16_e32 v89, v95, v100
	v_pack_b32_f16 v101, v88, v89
	v_add_f16_e32 v88, v22, v11
	v_fma_f16 v102, v88, -0.5, v62
	v_fma_f16 v88, v91, s8, v102
	v_fma_f16 v88, v90, s7, v88
	v_add_f16_e32 v62, v23, v62
	v_fma_f16 v103, v85, s14, v88
	v_add_f16_e32 v88, v26, v32
	v_add_f16_e32 v62, v11, v62
	v_fma_f16 v104, v88, -0.5, v63
	v_bfi_b32 v87, s15, v87, v97
	v_lshrrev_b32_e32 v106, 16, v98
	v_lshrrev_b32_e32 v89, 16, v63
	v_add_f16_sdwa v88, v26, v32 dst_sel:DWORD dst_unused:UNUSED_PAD src0_sel:WORD_1 src1_sel:WORD_1
	v_add_f16_e32 v62, v22, v62
	v_pk_mul_f16 v105, v87, s4
	v_fma_f16 v87, v106, s8, v104
	v_fma_f16 v107, v88, -0.5, v89
	v_add_f16_e32 v108, v24, v62
	v_add_f16_e32 v62, v27, v63
	v_add_f16_sdwa v87, v105, v87 dst_sel:DWORD dst_unused:UNUSED_PAD src0_sel:WORD_1 src1_sel:DWORD
	v_fma_f16 v88, v98, s9, v107
	v_add_f16_e32 v62, v32, v62
	v_fma_f16 v91, v91, s9, v102
	v_add_f16_e32 v87, v105, v87
	v_fma_f16 v88, v97, s6, v88
	v_add_f16_e32 v62, v26, v62
	v_fma_f16 v90, v90, s6, v91
	v_fma_f16 v88, v96, s14, v88
	v_add_f16_e32 v63, v25, v62
	v_mul_f16_e32 v62, 0x3a79, v87
	v_fma_f16 v85, v85, s14, v90
	v_fma_f16 v90, v106, s9, v104
	;; [unrolled: 1-line block ×4, first 2 shown]
	v_sub_f16_sdwa v90, v90, v105 dst_sel:DWORD dst_unused:UNUSED_PAD src0_sel:DWORD src1_sel:WORD_1
	v_fma_f16 v91, v97, s7, v91
	v_add_f16_e32 v90, v105, v90
	v_fma_f16 v91, v96, s14, v91
	v_sub_f16_e32 v96, v103, v109
	v_sub_f16_e32 v86, v86, v99
	v_pack_b32_f16 v96, v96, v86
	v_mul_f16_e32 v86, 0x3a79, v90
	v_fma_f16 v97, v91, s7, -v86
	v_add_f16_e32 v62, v63, v108
	v_sub_f16_e32 v63, v108, v63
	v_add_f16_e32 v86, v85, v97
	v_pack_b32_f16 v63, v86, v63
	v_add_u32_e32 v86, 0x968, v77
	ds_write2_b32 v86, v63, v96 offset1:1
	v_sub_f16_e32 v93, v78, v93
	v_pk_add_f16 v63, v19, v18 neg_lo:[0,1] neg_hi:[0,1]
	v_pk_add_f16 v78, v21, v16 neg_lo:[0,1] neg_hi:[0,1]
	v_sub_f16_e32 v92, v92, v84
	v_sub_f16_e32 v97, v85, v97
	v_pk_add_f16 v63, v78, v63
	v_add_f16_e32 v78, v16, v18
	v_pk_add_f16 v84, v19, v21 neg_lo:[0,1] neg_hi:[0,1]
	v_pk_add_f16 v85, v18, v16 neg_lo:[0,1] neg_hi:[0,1]
	v_sub_f16_e32 v96, v79, v80
	v_fma_f16 v78, v78, -0.5, v56
	v_lshrrev_b32_e32 v79, 16, v84
	v_bfi_b32 v63, s15, v63, v85
	v_fma_f16 v80, v79, s8, v78
	v_fma_f16 v79, v79, s9, v78
	v_pk_mul_f16 v63, v63, s4
	v_add_f16_sdwa v78, v63, v80 dst_sel:DWORD dst_unused:UNUSED_PAD src0_sel:WORD_1 src1_sel:DWORD
	v_sub_f16_sdwa v79, v79, v63 dst_sel:DWORD dst_unused:UNUSED_PAD src0_sel:DWORD src1_sel:WORD_1
	v_add_f16_e32 v78, v63, v78
	v_add_f16_e32 v63, v63, v79
	v_sub_f16_sdwa v79, v19, v18 dst_sel:DWORD dst_unused:UNUSED_PAD src0_sel:WORD_1 src1_sel:WORD_1
	v_sub_f16_sdwa v80, v21, v16 dst_sel:DWORD dst_unused:UNUSED_PAD src0_sel:WORD_1 src1_sel:WORD_1
	v_sub_f16_e32 v94, v81, v94
	v_add_f16_e32 v79, v80, v79
	v_lshrrev_b32_e32 v81, 16, v56
	v_add_f16_sdwa v80, v16, v18 dst_sel:DWORD dst_unused:UNUSED_PAD src0_sel:WORD_1 src1_sel:WORD_1
	v_fma_f16 v98, v80, -0.5, v81
	v_fma_f16 v80, v84, s9, v98
	v_fma_f16 v98, v84, s8, v98
	;; [unrolled: 1-line block ×6, first 2 shown]
	v_pk_add_f16 v98, v18, v19 neg_lo:[0,1] neg_hi:[0,1]
	v_pk_add_f16 v99, v16, v21 neg_lo:[0,1] neg_hi:[0,1]
	v_pk_add_f16 v98, v99, v98
	v_pk_add_f16 v99, v21, v19
	v_pk_fma_f16 v99, v99, 0.5, v56 op_sel_hi:[1,0,1] neg_lo:[1,0,0] neg_hi:[1,0,0]
	v_pk_mul_f16 v85, v85, s8 op_sel_hi:[1,0]
	v_sub_f16_e32 v95, v95, v100
	v_pk_add_f16 v100, v85, v99 op_sel:[1,0] op_sel_hi:[0,1]
	v_pk_add_f16 v85, v99, v85 op_sel:[0,1] op_sel_hi:[1,0] neg_lo:[0,1] neg_hi:[0,1]
	v_pk_mul_f16 v84, v84, s7 op_sel_hi:[1,0]
	v_add_f16_e32 v110, v103, v109
	v_pk_add_f16 v99, v100, v84 op_sel:[0,1] op_sel_hi:[1,0] neg_lo:[0,1] neg_hi:[0,1]
	v_pk_add_f16 v85, v84, v85 op_sel:[1,0] op_sel_hi:[0,1]
	v_pack_b32_f16 v92, v92, v94
	v_pack_b32_f16 v110, v62, v110
	v_add_u32_e32 v62, 0x960, v77
	v_pk_fma_f16 v84, v98, s14, v99 op_sel_hi:[1,0,1]
	v_pk_fma_f16 v85, v98, s14, v85 op_sel_hi:[1,0,1]
	v_pack_b32_f16 v93, v96, v93
	ds_write_b32 v77, v92 offset:1216
	v_pack_b32_f16 v92, v95, v97
	s_movk_i32 s18, 0x3a79
	v_cmp_gt_u32_e32 vcc, 36, v10
	ds_write2_b32 v62, v110, v101 offset1:1
	ds_write_b32 v77, v93 offset:16
	ds_write_b32 v77, v92 offset:2416
	s_and_saveexec_b64 s[4:5], vcc
	s_cbranch_execz .LBB0_17
; %bb.16:
	v_sub_f16_e32 v92, v17, v14
	v_sub_f16_e32 v93, v20, v3
	;; [unrolled: 1-line block ×4, first 2 shown]
	v_add_f16_e32 v92, v93, v92
	v_add_f16_e32 v93, v3, v14
	;; [unrolled: 1-line block ×4, first 2 shown]
	v_fma_f16 v93, v93, -0.5, v50
	v_sub_f16_e32 v94, v8, v13
	v_sub_f16_e32 v96, v12, v9
	v_fma_f16 v100, v100, -0.5, v50
	v_fma_f16 v95, v94, s9, v93
	v_fma_f16 v101, v96, s8, v100
	;; [unrolled: 1-line block ×4, first 2 shown]
	v_add_f16_e32 v50, v17, v50
	v_add_f16_e32 v56, v19, v56
	v_fma_f16 v95, v96, s6, v95
	v_fma_f16 v101, v94, s6, v101
	;; [unrolled: 1-line block ×4, first 2 shown]
	v_add_f16_e32 v50, v14, v50
	v_add_f16_e32 v56, v18, v56
	v_fma_f16 v95, v92, s14, v95
	v_mul_f16_e32 v97, 0x3a79, v63
	v_fma_f16 v101, v99, s14, v101
	v_lshrrev_b32_e32 v102, 16, v85
	v_mul_f16_e32 v103, 0x34f2, v84
	v_fma_f16 v99, v99, s14, v100
	v_mul_f16_e32 v100, 0x34f2, v85
	v_lshrrev_b32_e32 v104, 16, v84
	v_fma_f16 v92, v92, s14, v93
	v_mul_f16_e32 v93, 0x3a79, v78
	v_add_f16_e32 v50, v3, v50
	v_add_f16_e32 v56, v16, v56
	v_fma_f16 v97, v79, s7, -v97
	v_fma_f16 v102, v102, s8, -v103
	v_fma_f16 v100, v104, s8, v100
	v_fma_f16 v93, v80, s7, v93
	v_add_f16_e32 v50, v20, v50
	v_add_f16_e32 v56, v21, v56
	v_sub_f16_e32 v98, v95, v97
	v_sub_f16_e32 v104, v99, v100
	;; [unrolled: 1-line block ×4, first 2 shown]
	v_add_f16_e32 v95, v95, v97
	v_add_f16_e32 v97, v101, v102
	;; [unrolled: 1-line block ×5, first 2 shown]
	v_add_u32_e32 v56, 0xe10, v77
	v_pack_b32_f16 v93, v99, v97
	v_pack_b32_f16 v50, v50, v92
	v_sub_f16_e32 v103, v101, v102
	ds_write2_b32 v56, v50, v93 offset1:1
	v_add_u32_e32 v50, 0xe18, v77
	v_pack_b32_f16 v56, v94, v104
	v_pack_b32_f16 v92, v95, v96
	ds_write2_b32 v50, v92, v56 offset1:1
	v_pack_b32_f16 v50, v103, v98
	ds_write_b32 v77, v50 offset:3616
.LBB0_17:
	s_or_b64 exec, exec, s[4:5]
	v_add_f16_e32 v56, v58, v59
	v_fma_f16 v56, v56, -0.5, v61
	v_sub_f16_e32 v37, v41, v37
	v_fma_f16 v41, v37, s9, v56
	v_sub_f16_e32 v43, v43, v46
	v_sub_f16_e32 v46, v60, v59
	;; [unrolled: 1-line block ×3, first 2 shown]
	v_fma_f16 v56, v37, s8, v56
	v_add_f16_e32 v50, v60, v61
	v_fma_f16 v41, v43, s6, v41
	v_add_f16_e32 v46, v92, v46
	;; [unrolled: 2-line block ×3, first 2 shown]
	v_fma_f16 v41, v46, s14, v41
	v_fma_f16 v46, v46, s14, v56
	v_add_f16_e32 v56, v57, v60
	v_add_f16_e32 v50, v58, v50
	v_fma_f16 v56, v56, -0.5, v61
	v_add_f16_e32 v50, v57, v50
	v_fma_f16 v61, v43, s8, v56
	v_sub_f16_e32 v59, v59, v60
	v_sub_f16_e32 v57, v58, v57
	v_fma_f16 v43, v43, s9, v56
	v_add_f16_sdwa v39, v39, v64 dst_sel:DWORD dst_unused:UNUSED_PAD src0_sel:WORD_1 src1_sel:DWORD
	v_fma_f16 v61, v37, s6, v61
	v_add_f16_e32 v57, v57, v59
	v_fma_f16 v37, v37, s7, v43
	v_add_f16_sdwa v38, v38, v39 dst_sel:DWORD dst_unused:UNUSED_PAD src0_sel:WORD_1 src1_sel:DWORD
	s_mov_b32 s17, 0x34f23b9c
	v_mul_f16_e32 v57, 0x34f2, v57
	v_add_f16_sdwa v38, v40, v38 dst_sel:DWORD dst_unused:UNUSED_PAD src0_sel:WORD_1 src1_sel:DWORD
	v_pack_b32_f16 v37, v37, v61
	s_mov_b32 s16, 0x34f2bb9c
	v_pk_mul_f16 v39, v68, s17
	v_add_f16_sdwa v38, v42, v38 dst_sel:DWORD dst_unused:UNUSED_PAD src0_sel:WORD_1 src1_sel:DWORD
	v_pk_add_f16 v37, v57, v37 op_sel_hi:[0,1]
	v_pk_fma_f16 v39, v67, s16, v39 op_sel:[0,0,1] op_sel_hi:[1,1,0] neg_lo:[0,0,1] neg_hi:[0,0,1]
	v_add_f16_e32 v58, v38, v50
	v_mul_f16_e32 v1, 0xb8b4, v1
	v_pk_add_f16 v60, v37, v39
	v_sub_f16_e32 v61, v50, v38
	v_bfi_b32 v38, s15, v41, v37
	v_sub_f16_e32 v64, v37, v39
	v_add_f16_e32 v37, v52, v53
	v_fma_f16 v1, v66, s18, v1
	v_fma_f16 v37, v37, -0.5, v55
	v_sub_f16_e32 v29, v31, v29
	v_add_f16_e32 v59, v41, v1
	v_bfi_b32 v1, s15, v1, v39
	v_fma_f16 v31, v29, s9, v37
	v_sub_f16_e32 v28, v30, v28
	v_pk_add_f16 v1, v38, v1 neg_lo:[0,1] neg_hi:[0,1]
	v_fma_f16 v30, v28, s6, v31
	v_sub_f16_e32 v31, v54, v53
	v_sub_f16_e32 v38, v51, v52
	v_fma_f16 v37, v29, s8, v37
	v_add_f16_e32 v31, v38, v31
	v_fma_f16 v37, v28, s7, v37
	v_fma_f16 v30, v31, s14, v30
	;; [unrolled: 1-line block ×3, first 2 shown]
	v_add_f16_e32 v37, v51, v54
	v_mul_f16_e32 v2, 0x3a79, v2
	v_fma_f16 v37, v37, -0.5, v55
	v_fma_f16 v0, v0, s6, -v2
	v_fma_f16 v38, v28, s8, v37
	v_fma_f16 v28, v28, s9, v37
	v_add_f16_e32 v2, v46, v0
	v_sub_f16_e32 v66, v46, v0
	v_add_f16_e32 v0, v54, v55
	v_fma_f16 v38, v29, s6, v38
	v_sub_f16_e32 v39, v53, v54
	v_sub_f16_e32 v40, v52, v51
	v_fma_f16 v28, v29, s7, v28
	v_add_f16_sdwa v29, v34, v72 dst_sel:DWORD dst_unused:UNUSED_PAD src0_sel:WORD_1 src1_sel:DWORD
	v_add_f16_e32 v0, v53, v0
	v_add_f16_e32 v39, v40, v39
	v_add_f16_sdwa v29, v33, v29 dst_sel:DWORD dst_unused:UNUSED_PAD src0_sel:WORD_1 src1_sel:DWORD
	v_add_f16_e32 v0, v52, v0
	v_mul_f16_e32 v39, 0x34f2, v39
	v_add_f16_sdwa v29, v36, v29 dst_sel:DWORD dst_unused:UNUSED_PAD src0_sel:WORD_1 src1_sel:DWORD
	v_pack_b32_f16 v28, v28, v38
	v_pk_mul_f16 v34, v76, s17
	v_add_f16_e32 v0, v51, v0
	v_add_f16_sdwa v29, v35, v29 dst_sel:DWORD dst_unused:UNUSED_PAD src0_sel:WORD_1 src1_sel:DWORD
	v_mul_f16_e32 v33, 0xb8b4, v71
	v_pk_add_f16 v28, v39, v28 op_sel_hi:[0,1]
	v_pk_fma_f16 v34, v75, s16, v34 op_sel:[0,0,1] op_sel_hi:[1,1,0] neg_lo:[0,0,1] neg_hi:[0,0,1]
	v_add_f16_e32 v67, v29, v0
	v_fma_f16 v33, v74, s18, v33
	v_pk_add_f16 v71, v28, v34
	v_sub_f16_e32 v72, v0, v29
	v_bfi_b32 v0, s15, v30, v28
	v_sub_f16_e32 v74, v28, v34
	v_add_f16_e32 v28, v45, v47
	v_fma_f16 v28, v28, -0.5, v49
	v_sub_f16_e32 v23, v23, v24
	v_bfi_b32 v29, s15, v33, v34
	v_fma_f16 v24, v23, s9, v28
	v_sub_f16_e32 v11, v11, v22
	v_mul_f16_e32 v35, 0x3a79, v73
	v_pk_add_f16 v73, v0, v29 neg_lo:[0,1] neg_hi:[0,1]
	v_fma_f16 v22, v11, s6, v24
	v_sub_f16_e32 v24, v48, v47
	v_sub_f16_e32 v29, v44, v45
	v_fma_f16 v28, v23, s8, v28
	v_add_f16_e32 v24, v29, v24
	v_fma_f16 v28, v11, s7, v28
	v_fma_f16 v22, v24, s14, v22
	;; [unrolled: 1-line block ×3, first 2 shown]
	v_add_f16_e32 v28, v44, v48
	v_fma_f16 v28, v28, -0.5, v49
	v_fma_f16 v29, v11, s8, v28
	v_fma_f16 v11, v11, s9, v28
	v_fma_f16 v35, v69, s6, -v35
	v_fma_f16 v29, v23, s6, v29
	v_fma_f16 v11, v23, s7, v11
	v_add_f16_sdwa v23, v27, v89 dst_sel:DWORD dst_unused:UNUSED_PAD src0_sel:WORD_1 src1_sel:DWORD
	v_add_f16_e32 v68, v30, v33
	v_add_f16_e32 v69, v31, v35
	v_sub_f16_e32 v75, v31, v35
	v_add_f16_e32 v0, v48, v49
	v_sub_f16_e32 v30, v47, v48
	v_sub_f16_e32 v31, v45, v44
	v_add_f16_sdwa v23, v32, v23 dst_sel:DWORD dst_unused:UNUSED_PAD src0_sel:WORD_1 src1_sel:DWORD
	v_add_f16_e32 v0, v47, v0
	v_add_f16_e32 v30, v31, v30
	v_add_f16_sdwa v23, v26, v23 dst_sel:DWORD dst_unused:UNUSED_PAD src0_sel:WORD_1 src1_sel:DWORD
	v_add_f16_e32 v0, v45, v0
	v_mul_f16_e32 v30, 0x34f2, v30
	v_add_f16_sdwa v23, v25, v23 dst_sel:DWORD dst_unused:UNUSED_PAD src0_sel:WORD_1 src1_sel:DWORD
	v_mul_f16_e32 v25, 0xb8b4, v87
	v_pack_b32_f16 v11, v11, v29
	v_pk_mul_f16 v26, v83, s17
	v_add_f16_e32 v0, v44, v0
	v_fma_f16 v25, v88, s18, v25
	v_pk_add_f16 v11, v30, v11 op_sel_hi:[0,1]
	v_pk_fma_f16 v26, v82, s16, v26 op_sel:[0,0,1] op_sel_hi:[1,1,0] neg_lo:[0,0,1] neg_hi:[0,0,1]
	v_mul_f16_e32 v27, 0x3a79, v91
	v_add_f16_e32 v76, v23, v0
	v_add_f16_e32 v87, v22, v25
	v_pk_add_f16 v82, v11, v26
	v_fma_f16 v27, v90, s6, -v27
	v_sub_f16_e32 v88, v0, v23
	v_bfi_b32 v0, s15, v22, v11
	v_bfi_b32 v22, s15, v25, v26
	v_sub_f16_e32 v90, v11, v26
	v_lshl_add_u32 v11, v10, 1, 0
	v_add_f16_e32 v83, v24, v27
	v_pk_add_f16 v89, v0, v22 neg_lo:[0,1] neg_hi:[0,1]
	v_sub_f16_e32 v91, v24, v27
	s_waitcnt lgkmcnt(0)
	; wave barrier
	s_waitcnt lgkmcnt(0)
	ds_read_u16 v49, v11 offset:840
	ds_read_u16 v42, v11 offset:3720
	;; [unrolled: 1-line block ×5, first 2 shown]
	ds_read_u16 v27, v11
	ds_read_u16 v26, v11 offset:120
	ds_read_u16 v25, v11 offset:240
	;; [unrolled: 1-line block ×30, first 2 shown]
	v_pack_b32_f16 v2, v2, v61
	s_waitcnt lgkmcnt(0)
	; wave barrier
	s_waitcnt lgkmcnt(0)
	ds_write2_b32 v77, v2, v1 offset0:2 offset1:3
	v_pack_b32_f16 v1, v64, v66
	ds_write_b32 v77, v1 offset:16
	v_alignbit_b32 v1, v71, v71, 16
	v_pack_b32_f16 v2, v67, v68
	ds_write2_b32 v65, v2, v1 offset1:1
	v_pack_b32_f16 v1, v69, v72
	ds_write2_b32 v70, v1, v73 offset1:1
	v_pack_b32_f16 v1, v74, v75
	ds_write_b32 v77, v1 offset:1216
	v_alignbit_b32 v1, v82, v82, 16
	v_pack_b32_f16 v2, v76, v87
	ds_write2_b32 v62, v2, v1 offset1:1
	v_pack_b32_f16 v1, v83, v88
	v_add_u32_e32 v0, 0xb4, v10
	v_alignbit_b32 v60, v60, v60, 16
	v_pack_b32_f16 v58, v58, v59
	ds_write2_b32 v86, v1, v89 offset1:1
	v_pack_b32_f16 v1, v90, v91
	ds_write2_b32 v77, v58, v60 offset1:1
	ds_write_b32 v77, v1 offset:2416
	s_and_saveexec_b64 s[4:5], vcc
	s_cbranch_execz .LBB0_19
; %bb.18:
	v_add_f16_e32 v2, v9, v12
	v_fma_f16 v2, v2, -0.5, v15
	v_sub_f16_e32 v17, v17, v20
	s_mov_b32 s6, 0xbb9c
	v_fma_f16 v20, v17, s6, v2
	v_sub_f16_e32 v3, v14, v3
	s_mov_b32 s7, 0xb8b4
	s_movk_i32 s9, 0x3b9c
	v_fma_f16 v14, v3, s7, v20
	v_sub_f16_e32 v20, v8, v12
	v_sub_f16_e32 v58, v13, v9
	v_fma_f16 v2, v17, s9, v2
	s_movk_i32 s14, 0x38b4
	v_add_f16_e32 v20, v58, v20
	s_movk_i32 s8, 0x34f2
	v_fma_f16 v2, v3, s14, v2
	v_add_f16_e32 v1, v8, v15
	v_fma_f16 v14, v20, s8, v14
	v_fma_f16 v2, v20, s8, v2
	v_add_f16_e32 v20, v13, v8
	v_add_f16_e32 v1, v12, v1
	v_fma_f16 v15, v20, -0.5, v15
	v_add_f16_e32 v1, v9, v1
	v_fma_f16 v20, v3, s9, v15
	v_sub_f16_e32 v8, v12, v8
	v_sub_f16_e32 v9, v9, v13
	v_fma_f16 v3, v3, s6, v15
	v_fma_f16 v20, v17, s7, v20
	v_add_f16_e32 v8, v9, v8
	v_fma_f16 v3, v17, s14, v3
	v_add_f16_sdwa v9, v19, v81 dst_sel:DWORD dst_unused:UNUSED_PAD src0_sel:WORD_1 src1_sel:DWORD
	v_mul_f16_e32 v8, 0x34f2, v8
	v_add_f16_sdwa v9, v18, v9 dst_sel:DWORD dst_unused:UNUSED_PAD src0_sel:WORD_1 src1_sel:DWORD
	v_pack_b32_f16 v3, v3, v20
	v_add_f16_e32 v1, v13, v1
	v_add_f16_sdwa v9, v16, v9 dst_sel:DWORD dst_unused:UNUSED_PAD src0_sel:WORD_1 src1_sel:DWORD
	v_mul_f16_e32 v13, 0xb8b4, v78
	s_movk_i32 s6, 0x3a79
	v_pk_add_f16 v3, v8, v3 op_sel_hi:[0,1]
	v_pk_mul_f16 v8, v85, s17
	v_mul_f16_e32 v17, 0x3a79, v79
	v_add_f16_sdwa v9, v21, v9 dst_sel:DWORD dst_unused:UNUSED_PAD src0_sel:WORD_1 src1_sel:DWORD
	v_fma_f16 v13, v80, s6, v13
	v_pk_fma_f16 v8, v84, s16, v8 op_sel:[0,0,1] op_sel_hi:[1,1,0] neg_lo:[0,0,1] neg_hi:[0,0,1]
	v_fma_f16 v17, v63, s7, -v17
	s_mov_b32 s6, 0xffff
	v_add_f16_e32 v12, v9, v1
	v_add_f16_e32 v15, v14, v13
	v_pk_add_f16 v16, v3, v8
	v_add_f16_e32 v18, v2, v17
	v_sub_f16_e32 v1, v1, v9
	v_bfi_b32 v9, s6, v14, v3
	v_bfi_b32 v13, s6, v13, v8
	v_sub_f16_e32 v3, v3, v8
	v_mul_u32_u24_e32 v8, 10, v0
	v_pk_add_f16 v9, v9, v13 neg_lo:[0,1] neg_hi:[0,1]
	v_sub_f16_e32 v2, v2, v17
	v_lshl_add_u32 v8, v8, 1, 0
	v_pack_b32_f16 v1, v18, v1
	v_alignbit_b32 v13, v16, v16, 16
	v_pack_b32_f16 v12, v12, v15
	ds_write2_b32 v8, v1, v9 offset0:2 offset1:3
	v_pack_b32_f16 v1, v3, v2
	ds_write2_b32 v8, v12, v13 offset1:1
	ds_write_b32 v8, v1 offset:16
.LBB0_19:
	s_or_b64 exec, exec, s[4:5]
	s_movk_i32 s4, 0xcd
	v_mul_lo_u16_sdwa v1, v10, s4 dst_sel:DWORD dst_unused:UNUSED_PAD src0_sel:BYTE_0 src1_sel:DWORD
	v_lshrrev_b16_e32 v3, 11, v1
	v_mul_lo_u16_e32 v1, 10, v3
	v_sub_u16_e32 v8, v10, v1
	v_mov_b32_e32 v19, 5
	v_mul_u32_u24_sdwa v1, v8, v19 dst_sel:DWORD dst_unused:UNUSED_PAD src0_sel:BYTE_0 src1_sel:DWORD
	v_lshlrev_b32_e32 v2, 2, v1
	v_add_u16_e32 v13, 60, v10
	s_waitcnt lgkmcnt(0)
	; wave barrier
	s_waitcnt lgkmcnt(0)
	global_load_dwordx4 v[58:61], v2, s[12:13]
	v_mul_lo_u16_sdwa v9, v13, s4 dst_sel:DWORD dst_unused:UNUSED_PAD src0_sel:BYTE_0 src1_sel:DWORD
	v_lshrrev_b16_e32 v9, 11, v9
	v_mul_lo_u16_e32 v14, 10, v9
	v_sub_u16_e32 v13, v13, v14
	ds_read_u16 v20, v11 offset:840
	ds_read_u16 v21, v11 offset:3720
	global_load_dword v78, v2, s[12:13] offset:16
	v_mul_u32_u24_sdwa v2, v13, v19 dst_sel:DWORD dst_unused:UNUSED_PAD src0_sel:BYTE_0 src1_sel:DWORD
	v_lshlrev_b32_e32 v15, 2, v2
	global_load_dwordx4 v[62:65], v15, s[12:13]
	v_add_u16_e32 v2, 0x78, v10
	v_mul_lo_u16_sdwa v14, v2, s4 dst_sel:DWORD dst_unused:UNUSED_PAD src0_sel:BYTE_0 src1_sel:DWORD
	v_lshrrev_b16_e32 v14, 11, v14
	ds_read_u16 v79, v11 offset:1560
	ds_read_u16 v80, v11 offset:1680
	;; [unrolled: 1-line block ×3, first 2 shown]
	ds_read_u16 v82, v11
	ds_read_u16 v83, v11 offset:120
	ds_read_u16 v84, v11 offset:240
	;; [unrolled: 1-line block ×17, first 2 shown]
	global_load_dword v97, v15, s[12:13] offset:16
	v_mul_lo_u16_e32 v15, 10, v14
	v_sub_u16_e32 v15, v2, v15
	v_mul_u32_u24_sdwa v16, v15, v19 dst_sel:DWORD dst_unused:UNUSED_PAD src0_sel:BYTE_0 src1_sel:DWORD
	v_lshlrev_b32_e32 v76, 2, v16
	global_load_dwordx4 v[66:69], v76, s[12:13]
	ds_read_u16 v98, v11 offset:2280
	ds_read_u16 v99, v11 offset:2400
	ds_read_u16 v100, v11 offset:2520
	ds_read_u16 v101, v11 offset:2640
	ds_read_u16 v102, v11 offset:2760
	ds_read_u16 v103, v11 offset:2160
	ds_read_u16 v104, v11 offset:2040
	ds_read_u16 v105, v11 offset:3600
	ds_read_u16 v106, v11 offset:3480
	v_mul_lo_u16_sdwa v16, v0, s4 dst_sel:DWORD dst_unused:UNUSED_PAD src0_sel:BYTE_0 src1_sel:DWORD
	v_lshrrev_b16_e32 v16, 11, v16
	v_mul_lo_u16_e32 v17, 10, v16
	v_sub_u16_e32 v17, v0, v17
	v_add_u32_e32 v1, 0xf0, v10
	v_add_u32_e32 v12, 0x12c, v10
	v_mul_u32_u24_sdwa v19, v17, v19 dst_sel:DWORD dst_unused:UNUSED_PAD src0_sel:BYTE_0 src1_sel:DWORD
	s_mov_b32 s4, 0xcccd
	v_lshlrev_b32_e32 v19, 2, v19
	global_load_dword v107, v76, s[12:13] offset:16
	global_load_dwordx4 v[70:73], v19, s[12:13]
	v_mul_u32_u24_sdwa v76, v1, s4 dst_sel:DWORD dst_unused:UNUSED_PAD src0_sel:WORD_0 src1_sel:DWORD
	v_lshrrev_b32_e32 v112, 19, v76
	ds_read_u16 v108, v11 offset:3840
	ds_read_u16 v109, v11 offset:3960
	;; [unrolled: 1-line block ×4, first 2 shown]
	global_load_dword v19, v19, s[12:13] offset:16
	s_mov_b32 s5, 0xbaee
	v_mul_u32_u24_e32 v3, 0x78, v3
	s_movk_i32 s6, 0x89
	s_waitcnt vmcnt(7) lgkmcnt(14)
	v_mul_f16_sdwa v113, v75, v59 dst_sel:DWORD dst_unused:UNUSED_PAD src0_sel:DWORD src1_sel:WORD_1
	v_mul_f16_sdwa v114, v56, v59 dst_sel:DWORD dst_unused:UNUSED_PAD src0_sel:DWORD src1_sel:WORD_1
	s_waitcnt lgkmcnt(7)
	v_mul_f16_sdwa v115, v103, v60 dst_sel:DWORD dst_unused:UNUSED_PAD src0_sel:DWORD src1_sel:WORD_1
	v_fma_f16 v113, v56, v59, -v113
	v_mul_f16_sdwa v56, v57, v60 dst_sel:DWORD dst_unused:UNUSED_PAD src0_sel:DWORD src1_sel:WORD_1
	v_fma_f16 v59, v75, v59, v114
	v_fma_f16 v114, v57, v60, -v115
	v_fma_f16 v57, v103, v60, v56
	v_mul_f16_sdwa v56, v91, v61 dst_sel:DWORD dst_unused:UNUSED_PAD src0_sel:DWORD src1_sel:WORD_1
	v_fma_f16 v60, v53, v61, -v56
	v_mul_f16_sdwa v53, v53, v61 dst_sel:DWORD dst_unused:UNUSED_PAD src0_sel:DWORD src1_sel:WORD_1
	v_fma_f16 v61, v91, v61, v53
	s_waitcnt vmcnt(6) lgkmcnt(5)
	v_mul_f16_sdwa v53, v105, v78 dst_sel:DWORD dst_unused:UNUSED_PAD src0_sel:DWORD src1_sel:WORD_1
	v_fma_f16 v91, v54, v78, -v53
	v_mul_f16_sdwa v53, v54, v78 dst_sel:DWORD dst_unused:UNUSED_PAD src0_sel:DWORD src1_sel:WORD_1
	v_fma_f16 v78, v105, v78, v53
	s_waitcnt vmcnt(5)
	v_mul_f16_sdwa v53, v20, v62 dst_sel:DWORD dst_unused:UNUSED_PAD src0_sel:DWORD src1_sel:WORD_1
	v_fma_f16 v103, v49, v62, -v53
	v_mul_u32_u24_sdwa v53, v12, s4 dst_sel:DWORD dst_unused:UNUSED_PAD src0_sel:WORD_0 src1_sel:DWORD
	v_mul_f16_sdwa v76, v74, v58 dst_sel:DWORD dst_unused:UNUSED_PAD src0_sel:DWORD src1_sel:WORD_1
	v_lshrrev_b32_e32 v117, 19, v53
	v_mul_f16_sdwa v49, v49, v62 dst_sel:DWORD dst_unused:UNUSED_PAD src0_sel:DWORD src1_sel:WORD_1
	v_mul_f16_sdwa v77, v55, v58 dst_sel:DWORD dst_unused:UNUSED_PAD src0_sel:DWORD src1_sel:WORD_1
	v_fma_f16 v116, v55, v58, -v76
	v_mul_lo_u16_e32 v55, 10, v112
	v_mul_lo_u16_e32 v53, 10, v117
	v_fma_f16 v20, v20, v62, v49
	v_mul_f16_sdwa v49, v79, v63 dst_sel:DWORD dst_unused:UNUSED_PAD src0_sel:DWORD src1_sel:WORD_1
	v_sub_u16_e32 v115, v1, v55
	v_sub_u16_e32 v118, v12, v53
	v_fma_f16 v49, v50, v63, -v49
	v_mul_f16_sdwa v50, v50, v63 dst_sel:DWORD dst_unused:UNUSED_PAD src0_sel:DWORD src1_sel:WORD_1
	v_mul_u32_u24_e32 v55, 5, v115
	v_mul_u32_u24_e32 v53, 5, v118
	v_fma_f16 v50, v79, v63, v50
	v_mul_f16_sdwa v63, v92, v65 dst_sel:DWORD dst_unused:UNUSED_PAD src0_sel:DWORD src1_sel:WORD_1
	v_lshlrev_b32_e32 v55, 2, v55
	v_lshlrev_b32_e32 v119, 2, v53
	v_fma_f16 v63, v51, v65, -v63
	v_mul_f16_sdwa v51, v51, v65 dst_sel:DWORD dst_unused:UNUSED_PAD src0_sel:DWORD src1_sel:WORD_1
	v_fma_f16 v58, v74, v58, v77
	global_load_dwordx4 v[74:77], v55, s[12:13]
	global_load_dword v105, v55, s[12:13] offset:16
	v_fma_f16 v51, v92, v65, v51
	global_load_dword v65, v119, s[12:13] offset:16
	global_load_dwordx4 v[53:56], v119, s[12:13]
	v_mul_f16_sdwa v62, v98, v64 dst_sel:DWORD dst_unused:UNUSED_PAD src0_sel:DWORD src1_sel:WORD_1
	v_fma_f16 v62, v52, v64, -v62
	v_mul_f16_sdwa v52, v52, v64 dst_sel:DWORD dst_unused:UNUSED_PAD src0_sel:DWORD src1_sel:WORD_1
	v_fma_f16 v52, v98, v64, v52
	s_waitcnt vmcnt(8)
	v_mul_f16_sdwa v64, v21, v97 dst_sel:DWORD dst_unused:UNUSED_PAD src0_sel:DWORD src1_sel:WORD_1
	v_fma_f16 v64, v42, v97, -v64
	v_mul_f16_sdwa v42, v42, v97 dst_sel:DWORD dst_unused:UNUSED_PAD src0_sel:DWORD src1_sel:WORD_1
	v_fma_f16 v21, v21, v97, v42
	s_waitcnt vmcnt(7)
	v_mul_f16_sdwa v42, v87, v66 dst_sel:DWORD dst_unused:UNUSED_PAD src0_sel:DWORD src1_sel:WORD_1
	v_fma_f16 v42, v46, v66, -v42
	v_mul_f16_sdwa v46, v46, v66 dst_sel:DWORD dst_unused:UNUSED_PAD src0_sel:DWORD src1_sel:WORD_1
	v_fma_f16 v46, v87, v66, v46
	v_mul_f16_sdwa v66, v80, v67 dst_sel:DWORD dst_unused:UNUSED_PAD src0_sel:DWORD src1_sel:WORD_1
	v_fma_f16 v66, v40, v67, -v66
	v_mul_f16_sdwa v40, v40, v67 dst_sel:DWORD dst_unused:UNUSED_PAD src0_sel:DWORD src1_sel:WORD_1
	v_fma_f16 v40, v80, v67, v40
	s_waitcnt vmcnt(5)
	v_mul_f16_sdwa v79, v88, v70 dst_sel:DWORD dst_unused:UNUSED_PAD src0_sel:DWORD src1_sel:WORD_1
	v_fma_f16 v79, v41, v70, -v79
	v_mul_f16_sdwa v41, v41, v70 dst_sel:DWORD dst_unused:UNUSED_PAD src0_sel:DWORD src1_sel:WORD_1
	v_fma_f16 v41, v88, v70, v41
	v_mul_f16_sdwa v70, v81, v71 dst_sel:DWORD dst_unused:UNUSED_PAD src0_sel:DWORD src1_sel:WORD_1
	v_fma_f16 v70, v36, v71, -v70
	v_mul_f16_sdwa v36, v36, v71 dst_sel:DWORD dst_unused:UNUSED_PAD src0_sel:DWORD src1_sel:WORD_1
	v_fma_f16 v36, v81, v71, v36
	;; [unrolled: 4-line block ×3, first 2 shown]
	v_mul_f16_sdwa v72, v94, v73 dst_sel:DWORD dst_unused:UNUSED_PAD src0_sel:DWORD src1_sel:WORD_1
	v_fma_f16 v72, v39, v73, -v72
	v_mul_f16_sdwa v39, v39, v73 dst_sel:DWORD dst_unused:UNUSED_PAD src0_sel:DWORD src1_sel:WORD_1
	v_add_f16_e32 v81, v113, v60
	v_fma_f16 v39, v94, v73, v39
	s_waitcnt vmcnt(4) lgkmcnt(2)
	v_mul_f16_sdwa v73, v109, v19 dst_sel:DWORD dst_unused:UNUSED_PAD src0_sel:DWORD src1_sel:WORD_1
	s_movk_i32 s4, 0x3aee
	v_fma_f16 v73, v44, v19, -v73
	v_mul_f16_sdwa v44, v44, v19 dst_sel:DWORD dst_unused:UNUSED_PAD src0_sel:DWORD src1_sel:WORD_1
	v_fma_f16 v19, v109, v19, v44
	v_sub_f16_e32 v88, v57, v78
	v_mul_f16_sdwa v67, v99, v68 dst_sel:DWORD dst_unused:UNUSED_PAD src0_sel:DWORD src1_sel:WORD_1
	v_fma_f16 v67, v47, v68, -v67
	v_mul_f16_sdwa v47, v47, v68 dst_sel:DWORD dst_unused:UNUSED_PAD src0_sel:DWORD src1_sel:WORD_1
	v_fma_f16 v47, v99, v68, v47
	v_mul_f16_sdwa v68, v93, v69 dst_sel:DWORD dst_unused:UNUSED_PAD src0_sel:DWORD src1_sel:WORD_1
	v_fma_f16 v68, v45, v69, -v68
	v_mul_f16_sdwa v45, v45, v69 dst_sel:DWORD dst_unused:UNUSED_PAD src0_sel:DWORD src1_sel:WORD_1
	v_fma_f16 v45, v93, v69, v45
	;; [unrolled: 4-line block ×3, first 2 shown]
	s_waitcnt lgkmcnt(0)
	; wave barrier
	s_waitcnt vmcnt(3) lgkmcnt(0)
	v_mul_f16_sdwa v44, v89, v74 dst_sel:DWORD dst_unused:UNUSED_PAD src0_sel:DWORD src1_sel:WORD_1
	v_fma_f16 v44, v35, v74, -v44
	v_mul_f16_sdwa v35, v35, v74 dst_sel:DWORD dst_unused:UNUSED_PAD src0_sel:DWORD src1_sel:WORD_1
	v_fma_f16 v35, v89, v74, v35
	s_waitcnt vmcnt(0)
	v_mul_f16_sdwa v80, v96, v53 dst_sel:DWORD dst_unused:UNUSED_PAD src0_sel:DWORD src1_sel:WORD_1
	v_fma_f16 v80, v31, v53, -v80
	v_mul_f16_sdwa v31, v31, v53 dst_sel:DWORD dst_unused:UNUSED_PAD src0_sel:DWORD src1_sel:WORD_1
	v_fma_f16 v31, v96, v53, v31
	v_mul_f16_sdwa v53, v104, v54 dst_sel:DWORD dst_unused:UNUSED_PAD src0_sel:DWORD src1_sel:WORD_1
	v_fma_f16 v53, v33, v54, -v53
	v_mul_f16_sdwa v33, v33, v54 dst_sel:DWORD dst_unused:UNUSED_PAD src0_sel:DWORD src1_sel:WORD_1
	v_fma_f16 v33, v104, v54, v33
	;; [unrolled: 4-line block ×5, first 2 shown]
	v_add_f16_e32 v65, v27, v113
	v_fma_f16 v27, v81, -0.5, v27
	v_sub_f16_e32 v81, v59, v61
	v_fma_f16 v87, v81, s4, v27
	v_fma_f16 v27, v81, s5, v27
	v_add_f16_e32 v81, v82, v59
	v_add_f16_e32 v59, v59, v61
	v_fma_f16 v59, v59, -0.5, v82
	v_add_f16_e32 v82, v114, v91
	v_fma_f16 v82, v82, -0.5, v116
	v_fma_f16 v89, v88, s4, v82
	v_fma_f16 v82, v88, s5, v82
	v_add_f16_e32 v88, v58, v57
	v_add_f16_e32 v57, v57, v78
	v_mul_f16_sdwa v74, v90, v75 dst_sel:DWORD dst_unused:UNUSED_PAD src0_sel:DWORD src1_sel:WORD_1
	v_fma_f16 v57, v57, -0.5, v58
	v_sub_f16_e32 v58, v114, v91
	v_fma_f16 v74, v34, v75, -v74
	v_mul_f16_sdwa v34, v34, v75 dst_sel:DWORD dst_unused:UNUSED_PAD src0_sel:DWORD src1_sel:WORD_1
	v_add_f16_e32 v88, v88, v78
	v_fma_f16 v78, v58, s5, v57
	v_fma_f16 v34, v90, v75, v34
	v_mul_f16_e32 v90, 0x3aee, v78
	v_add_f16_e32 v65, v65, v60
	v_sub_f16_e32 v60, v113, v60
	v_fma_f16 v57, v58, s4, v57
	v_fma_f16 v90, v89, 0.5, v90
	v_mul_f16_e32 v92, -0.5, v82
	v_mul_f16_e32 v89, 0xbaee, v89
	v_add_f16_e32 v81, v81, v61
	v_fma_f16 v61, v60, s5, v59
	v_fma_f16 v92, v57, s4, v92
	v_fma_f16 v78, v78, 0.5, v89
	v_mul_f16_e32 v57, -0.5, v57
	v_fma_f16 v59, v60, s4, v59
	v_add_f16_e32 v60, v116, v114
	v_add_f16_e32 v89, v61, v78
	v_fma_f16 v57, v82, s5, v57
	v_sub_f16_e32 v61, v61, v78
	v_add_f16_e32 v78, v49, v63
	v_add_f16_e32 v60, v60, v91
	;; [unrolled: 1-line block ×3, first 2 shown]
	v_sub_f16_e32 v57, v59, v57
	v_add_f16_e32 v59, v26, v49
	v_fma_f16 v26, v78, -0.5, v26
	v_sub_f16_e32 v78, v50, v51
	v_add_f16_e32 v58, v65, v60
	v_add_f16_e32 v91, v87, v90
	v_sub_f16_e32 v60, v65, v60
	v_sub_f16_e32 v65, v87, v90
	v_add_f16_e32 v59, v59, v63
	v_fma_f16 v87, v78, s4, v26
	v_fma_f16 v26, v78, s5, v26
	v_add_f16_e32 v78, v83, v50
	v_add_f16_e32 v50, v50, v51
	v_sub_f16_e32 v49, v49, v63
	v_add_f16_e32 v63, v62, v64
	v_fma_f16 v50, v50, -0.5, v83
	v_fma_f16 v63, v63, -0.5, v103
	v_sub_f16_e32 v83, v52, v21
	v_add_f16_e32 v94, v81, v88
	v_sub_f16_e32 v81, v81, v88
	v_fma_f16 v88, v83, s4, v63
	v_fma_f16 v63, v83, s5, v63
	v_add_f16_e32 v83, v20, v52
	v_add_f16_e32 v83, v83, v21
	;; [unrolled: 1-line block ×3, first 2 shown]
	v_fma_f16 v20, v21, -0.5, v20
	v_sub_f16_e32 v21, v62, v64
	v_fma_f16 v52, v21, s5, v20
	v_add_f16_e32 v78, v78, v51
	v_fma_f16 v51, v49, s5, v50
	v_fma_f16 v49, v49, s4, v50
	v_add_f16_e32 v50, v103, v62
	v_mul_f16_e32 v62, 0x3aee, v52
	v_mul_f16_sdwa v75, v101, v76 dst_sel:DWORD dst_unused:UNUSED_PAD src0_sel:DWORD src1_sel:WORD_1
	v_fma_f16 v20, v21, s4, v20
	v_fma_f16 v62, v88, 0.5, v62
	v_mul_f16_e32 v90, -0.5, v63
	v_mul_f16_e32 v88, 0xbaee, v88
	v_fma_f16 v75, v37, v76, -v75
	v_mul_f16_sdwa v37, v37, v76 dst_sel:DWORD dst_unused:UNUSED_PAD src0_sel:DWORD src1_sel:WORD_1
	v_fma_f16 v90, v20, s4, v90
	v_fma_f16 v52, v52, 0.5, v88
	v_mul_f16_e32 v20, -0.5, v20
	v_fma_f16 v37, v101, v76, v37
	v_mul_f16_sdwa v76, v95, v77 dst_sel:DWORD dst_unused:UNUSED_PAD src0_sel:DWORD src1_sel:WORD_1
	v_add_f16_e32 v88, v51, v52
	v_fma_f16 v20, v63, s5, v20
	v_sub_f16_e32 v51, v51, v52
	v_add_f16_e32 v52, v66, v68
	v_fma_f16 v76, v32, v77, -v76
	v_mul_f16_sdwa v32, v32, v77 dst_sel:DWORD dst_unused:UNUSED_PAD src0_sel:DWORD src1_sel:WORD_1
	v_add_f16_e32 v50, v50, v64
	v_add_f16_e32 v63, v49, v20
	v_sub_f16_e32 v20, v49, v20
	v_add_f16_e32 v49, v25, v66
	v_fma_f16 v25, v52, -0.5, v25
	v_sub_f16_e32 v52, v40, v45
	v_fma_f16 v32, v95, v77, v32
	v_add_f16_e32 v21, v59, v50
	v_add_f16_e32 v64, v87, v62
	;; [unrolled: 1-line block ×3, first 2 shown]
	v_sub_f16_e32 v50, v59, v50
	v_sub_f16_e32 v59, v87, v62
	;; [unrolled: 1-line block ×3, first 2 shown]
	v_fma_f16 v78, v52, s4, v25
	v_fma_f16 v25, v52, s5, v25
	v_add_f16_e32 v52, v84, v40
	v_add_f16_e32 v40, v40, v45
	v_add_f16_e32 v49, v49, v68
	v_add_f16_e32 v52, v52, v45
	v_fma_f16 v40, v40, -0.5, v84
	v_sub_f16_e32 v45, v66, v68
	v_add_f16_e32 v68, v67, v69
	v_fma_f16 v66, v45, s5, v40
	v_fma_f16 v40, v45, s4, v40
	v_add_f16_e32 v45, v42, v67
	v_fma_f16 v42, v68, -0.5, v42
	v_sub_f16_e32 v68, v47, v48
	v_fma_f16 v83, v68, s4, v42
	v_fma_f16 v42, v68, s5, v42
	v_add_f16_e32 v68, v46, v47
	v_add_f16_e32 v47, v47, v48
	v_fma_f16 v46, v47, -0.5, v46
	v_sub_f16_e32 v47, v67, v69
	v_add_f16_e32 v68, v68, v48
	v_fma_f16 v48, v47, s5, v46
	v_mul_f16_e32 v67, 0x3aee, v48
	v_fma_f16 v46, v47, s4, v46
	v_fma_f16 v67, v83, 0.5, v67
	v_mul_f16_e32 v84, -0.5, v42
	v_mul_f16_e32 v83, 0xbaee, v83
	v_fma_f16 v84, v46, s4, v84
	v_fma_f16 v48, v48, 0.5, v83
	v_mul_f16_e32 v46, -0.5, v46
	v_add_f16_e32 v83, v66, v48
	v_fma_f16 v42, v42, s5, v46
	v_sub_f16_e32 v48, v66, v48
	v_add_f16_e32 v66, v70, v72
	v_add_f16_e32 v45, v45, v69
	;; [unrolled: 1-line block ×3, first 2 shown]
	v_sub_f16_e32 v40, v40, v42
	v_add_f16_e32 v42, v24, v70
	v_fma_f16 v24, v66, -0.5, v24
	v_sub_f16_e32 v66, v36, v39
	v_add_f16_e32 v47, v49, v45
	v_add_f16_e32 v69, v78, v67
	v_sub_f16_e32 v45, v49, v45
	v_sub_f16_e32 v49, v78, v67
	v_fma_f16 v67, v66, s4, v24
	v_fma_f16 v24, v66, s5, v24
	v_add_f16_e32 v66, v85, v36
	v_add_f16_e32 v66, v66, v39
	;; [unrolled: 1-line block ×3, first 2 shown]
	v_sub_f16_e32 v39, v70, v72
	v_add_f16_e32 v70, v71, v73
	v_add_f16_e32 v42, v42, v72
	v_fma_f16 v70, v70, -0.5, v79
	v_sub_f16_e32 v72, v43, v19
	v_fma_f16 v78, v72, s4, v70
	v_fma_f16 v70, v72, s5, v70
	v_add_f16_e32 v72, v41, v43
	v_add_f16_e32 v72, v72, v19
	;; [unrolled: 1-line block ×3, first 2 shown]
	v_fma_f16 v19, v19, -0.5, v41
	v_sub_f16_e32 v41, v71, v73
	v_fma_f16 v36, v36, -0.5, v85
	v_fma_f16 v43, v41, s5, v19
	v_add_f16_e32 v93, v27, v92
	v_sub_f16_e32 v27, v27, v92
	v_add_f16_e32 v92, v26, v90
	v_sub_f16_e32 v26, v26, v90
	;; [unrolled: 2-line block ×3, first 2 shown]
	v_fma_f16 v68, v39, s5, v36
	v_fma_f16 v36, v39, s4, v36
	v_add_f16_e32 v39, v79, v71
	v_fma_f16 v19, v41, s4, v19
	v_mul_f16_e32 v71, 0x3aee, v43
	v_mul_f16_e32 v79, -0.5, v70
	v_add_f16_e32 v39, v39, v73
	v_fma_f16 v71, v78, 0.5, v71
	v_fma_f16 v79, v19, s4, v79
	v_mul_f16_e32 v19, -0.5, v19
	v_add_f16_e32 v41, v42, v39
	v_add_f16_e32 v73, v67, v71
	v_mul_f16_e32 v78, 0xbaee, v78
	v_fma_f16 v19, v70, s5, v19
	v_sub_f16_e32 v39, v42, v39
	v_sub_f16_e32 v42, v67, v71
	v_add_f16_e32 v67, v74, v76
	v_fma_f16 v43, v43, 0.5, v78
	v_add_f16_e32 v70, v36, v19
	v_sub_f16_e32 v19, v36, v19
	v_add_f16_e32 v36, v23, v74
	v_fma_f16 v23, v67, -0.5, v23
	v_sub_f16_e32 v67, v34, v32
	v_mul_f16_sdwa v77, v110, v105 dst_sel:DWORD dst_unused:UNUSED_PAD src0_sel:DWORD src1_sel:WORD_1
	v_add_f16_e32 v78, v68, v43
	v_sub_f16_e32 v43, v68, v43
	v_fma_f16 v68, v67, s4, v23
	v_fma_f16 v23, v67, s5, v23
	v_add_f16_e32 v67, v86, v34
	v_fma_f16 v77, v38, v105, -v77
	v_mul_f16_sdwa v38, v38, v105 dst_sel:DWORD dst_unused:UNUSED_PAD src0_sel:DWORD src1_sel:WORD_1
	v_add_f16_e32 v67, v67, v32
	v_add_f16_e32 v32, v34, v32
	v_fma_f16 v38, v110, v105, v38
	v_add_f16_e32 v85, v66, v72
	v_sub_f16_e32 v66, v66, v72
	v_fma_f16 v32, v32, -0.5, v86
	v_sub_f16_e32 v34, v74, v76
	v_add_f16_e32 v72, v75, v77
	v_fma_f16 v71, v34, s5, v32
	v_fma_f16 v32, v34, s4, v32
	v_add_f16_e32 v34, v44, v75
	v_fma_f16 v44, v72, -0.5, v44
	v_sub_f16_e32 v72, v37, v38
	v_fma_f16 v74, v72, s4, v44
	v_fma_f16 v44, v72, s5, v44
	v_add_f16_e32 v72, v35, v37
	v_add_f16_e32 v37, v37, v38
	v_fma_f16 v35, v37, -0.5, v35
	v_sub_f16_e32 v37, v75, v77
	v_add_f16_e32 v72, v72, v38
	v_fma_f16 v38, v37, s5, v35
	v_add_f16_e32 v34, v34, v77
	v_fma_f16 v35, v37, s4, v35
	v_mul_f16_e32 v75, 0x3aee, v38
	v_mul_f16_e32 v77, -0.5, v44
	v_add_f16_e32 v36, v36, v76
	v_fma_f16 v75, v74, 0.5, v75
	v_fma_f16 v77, v35, s4, v77
	v_mul_f16_e32 v35, -0.5, v35
	v_add_f16_e32 v37, v36, v34
	v_add_f16_e32 v76, v68, v75
	v_mul_f16_e32 v74, 0xbaee, v74
	v_fma_f16 v35, v44, s5, v35
	v_sub_f16_e32 v34, v36, v34
	v_sub_f16_e32 v36, v68, v75
	v_add_f16_e32 v68, v53, v55
	v_fma_f16 v38, v38, 0.5, v74
	v_add_f16_e32 v44, v32, v35
	v_sub_f16_e32 v32, v32, v35
	v_add_f16_e32 v35, v22, v53
	v_fma_f16 v22, v68, -0.5, v22
	v_sub_f16_e32 v68, v33, v29
	v_add_f16_e32 v74, v71, v38
	v_sub_f16_e32 v38, v71, v38
	v_fma_f16 v71, v68, s4, v22
	v_fma_f16 v22, v68, s5, v22
	v_add_f16_e32 v68, v18, v33
	v_add_f16_e32 v68, v68, v29
	v_add_f16_e32 v29, v33, v29
	v_fma_f16 v18, v29, -0.5, v18
	v_sub_f16_e32 v29, v53, v55
	v_add_f16_e32 v53, v54, v56
	v_add_f16_e32 v35, v35, v55
	v_fma_f16 v53, v53, -0.5, v80
	v_sub_f16_e32 v55, v28, v30
	v_add_f16_e32 v86, v67, v72
	v_sub_f16_e32 v67, v67, v72
	v_fma_f16 v72, v55, s4, v53
	v_fma_f16 v53, v55, s5, v53
	v_add_f16_e32 v55, v31, v28
	v_add_f16_e32 v28, v28, v30
	v_add_f16_e32 v55, v55, v30
	v_fma_f16 v28, v28, -0.5, v31
	v_sub_f16_e32 v30, v54, v56
	v_fma_f16 v31, v30, s5, v28
	v_fma_f16 v28, v30, s4, v28
	v_mul_f16_e32 v75, -0.5, v53
	v_fma_f16 v75, v28, s4, v75
	v_mul_f16_e32 v28, -0.5, v28
	v_fma_f16 v33, v29, s5, v18
	v_fma_f16 v18, v29, s4, v18
	v_add_f16_e32 v29, v80, v54
	v_mul_f16_e32 v54, 0x3aee, v31
	v_fma_f16 v28, v53, s5, v28
	v_fma_f16 v54, v72, 0.5, v54
	v_mul_f16_e32 v72, 0xbaee, v72
	v_add_f16_e32 v53, v18, v28
	v_sub_f16_e32 v18, v18, v28
	v_mov_b32_e32 v28, 1
	v_fma_f16 v31, v31, 0.5, v72
	v_lshlrev_b32_sdwa v8, v28, v8 dst_sel:DWORD dst_unused:UNUSED_PAD src0_sel:DWORD src1_sel:BYTE_0
	v_add_f16_e32 v72, v33, v31
	v_sub_f16_e32 v31, v33, v31
	v_add3_u32 v33, 0, v3, v8
	v_mul_u32_u24_e32 v3, 0x78, v9
	v_lshlrev_b32_sdwa v8, v28, v13 dst_sel:DWORD dst_unused:UNUSED_PAD src0_sel:DWORD src1_sel:BYTE_0
	v_add3_u32 v13, 0, v3, v8
	v_mul_u32_u24_e32 v3, 0x78, v14
	v_lshlrev_b32_sdwa v8, v28, v15 dst_sel:DWORD dst_unused:UNUSED_PAD src0_sel:DWORD src1_sel:BYTE_0
	;; [unrolled: 3-line block ×3, first 2 shown]
	v_add3_u32 v16, 0, v3, v8
	v_mul_u32_u24_e32 v3, 0x78, v112
	v_lshlrev_b32_e32 v8, 1, v115
	v_add_f16_e32 v29, v29, v56
	v_add3_u32 v17, 0, v3, v8
	v_mul_u32_u24_e32 v3, 0x78, v117
	v_lshlrev_b32_e32 v8, 1, v118
	v_add_f16_e32 v87, v25, v84
	v_sub_f16_e32 v25, v25, v84
	v_add_f16_e32 v84, v24, v79
	v_sub_f16_e32 v24, v24, v79
	;; [unrolled: 2-line block ×3, first 2 shown]
	v_add_f16_e32 v30, v35, v29
	v_add_f16_e32 v56, v71, v54
	;; [unrolled: 1-line block ×3, first 2 shown]
	v_sub_f16_e32 v29, v35, v29
	v_sub_f16_e32 v35, v71, v54
	ds_write_b16 v33, v58
	ds_write_b16 v33, v91 offset:20
	ds_write_b16 v33, v93 offset:40
	;; [unrolled: 1-line block ×5, first 2 shown]
	ds_write_b16 v13, v21
	ds_write_b16 v13, v64 offset:20
	ds_write_b16 v13, v92 offset:40
	;; [unrolled: 1-line block ×5, first 2 shown]
	v_add3_u32 v21, 0, v3, v8
	v_add_f16_e32 v80, v68, v55
	v_sub_f16_e32 v22, v22, v75
	v_sub_f16_e32 v54, v68, v55
	ds_write_b16 v15, v47
	ds_write_b16 v15, v69 offset:20
	ds_write_b16 v15, v87 offset:40
	ds_write_b16 v15, v45 offset:60
	ds_write_b16 v15, v49 offset:80
	ds_write_b16 v15, v25 offset:100
	ds_write_b16 v16, v41
	ds_write_b16 v16, v73 offset:20
	ds_write_b16 v16, v84 offset:40
	ds_write_b16 v16, v39 offset:60
	ds_write_b16 v16, v42 offset:80
	ds_write_b16 v16, v24 offset:100
	;; [unrolled: 6-line block ×4, first 2 shown]
	s_waitcnt lgkmcnt(0)
	; wave barrier
	s_waitcnt lgkmcnt(0)
	ds_read_u16 v36, v11 offset:840
	ds_read_u16 v37, v11 offset:3720
	;; [unrolled: 1-line block ×5, first 2 shown]
	ds_read_u16 v45, v11
	ds_read_u16 v47, v11 offset:120
	ds_read_u16 v14, v11 offset:240
	;; [unrolled: 1-line block ×30, first 2 shown]
	s_waitcnt lgkmcnt(0)
	; wave barrier
	s_waitcnt lgkmcnt(0)
	ds_write_b16 v33, v94
	ds_write_b16 v33, v89 offset:20
	ds_write_b16 v33, v82 offset:40
	ds_write_b16 v33, v81 offset:60
	ds_write_b16 v33, v61 offset:80
	ds_write_b16 v33, v57 offset:100
	ds_write_b16 v13, v95
	ds_write_b16 v13, v88 offset:20
	ds_write_b16 v13, v63 offset:40
	ds_write_b16 v13, v62 offset:60
	ds_write_b16 v13, v51 offset:80
	ds_write_b16 v13, v20 offset:100
	;; [unrolled: 6-line block ×6, first 2 shown]
	v_mul_u32_u24_e32 v13, 5, v10
	v_lshlrev_b32_e32 v13, 2, v13
	s_waitcnt lgkmcnt(0)
	; wave barrier
	s_waitcnt lgkmcnt(0)
	global_load_dwordx4 v[16:19], v13, s[12:13] offset:200
	global_load_dword v38, v13, s[12:13] offset:216
	v_mul_lo_u16_sdwa v20, v2, s6 dst_sel:DWORD dst_unused:UNUSED_PAD src0_sel:BYTE_0 src1_sel:DWORD
	v_lshrrev_b16_e32 v20, 13, v20
	v_mul_lo_u16_e32 v20, 60, v20
	ds_read_u16 v40, v11 offset:840
	ds_read_u16 v43, v11 offset:3720
	;; [unrolled: 1-line block ×5, first 2 shown]
	ds_read_u16 v51, v11
	ds_read_u16 v52, v11 offset:120
	ds_read_u16 v53, v11 offset:240
	;; [unrolled: 1-line block ×17, first 2 shown]
	v_sub_u16_e32 v2, v2, v20
	v_and_b32_e32 v2, 0xff, v2
	v_mul_u32_u24_e32 v20, 5, v2
	v_lshlrev_b32_e32 v24, 2, v20
	global_load_dwordx4 v[20:23], v24, s[12:13] offset:200
	ds_read_u16 v80, v11 offset:2280
	ds_read_u16 v81, v11 offset:2400
	ds_read_u16 v82, v11 offset:2520
	ds_read_u16 v83, v11 offset:2640
	ds_read_u16 v85, v11 offset:2760
	ds_read_u16 v33, v11 offset:2160
	ds_read_u16 v86, v11 offset:2040
	ds_read_u16 v88, v11 offset:3600
	ds_read_u16 v89, v11 offset:3480
	global_load_dword v90, v24, s[12:13] offset:216
	v_mul_lo_u16_sdwa v24, v0, s6 dst_sel:DWORD dst_unused:UNUSED_PAD src0_sel:BYTE_0 src1_sel:DWORD
	s_mov_b32 s6, 0x8889
	v_lshrrev_b16_e32 v24, 13, v24
	v_mul_lo_u16_e32 v24, 60, v24
	v_sub_u16_e32 v0, v0, v24
	v_and_b32_e32 v0, 0xff, v0
	v_mul_u32_u24_e32 v24, 5, v0
	v_lshlrev_b32_e32 v93, 2, v24
	global_load_dwordx4 v[24:27], v93, s[12:13] offset:200
	ds_read_u16 v94, v11 offset:3840
	ds_read_u16 v95, v11 offset:3960
	;; [unrolled: 1-line block ×4, first 2 shown]
	global_load_dword v93, v93, s[12:13] offset:216
	v_lshl_add_u32 v2, v2, 1, 0
	v_lshl_add_u32 v0, v0, 1, 0
	s_waitcnt vmcnt(5) lgkmcnt(14)
	v_mul_f16_sdwa v98, v30, v16 dst_sel:DWORD dst_unused:UNUSED_PAD src0_sel:DWORD src1_sel:WORD_1
	v_fma_f16 v98, v28, v16, -v98
	v_mul_f16_sdwa v28, v28, v16 dst_sel:DWORD dst_unused:UNUSED_PAD src0_sel:DWORD src1_sel:WORD_1
	v_fma_f16 v99, v30, v16, v28
	v_mul_f16_sdwa v28, v31, v17 dst_sel:DWORD dst_unused:UNUSED_PAD src0_sel:DWORD src1_sel:WORD_1
	v_fma_f16 v100, v29, v17, -v28
	v_mul_f16_sdwa v28, v29, v17 dst_sel:DWORD dst_unused:UNUSED_PAD src0_sel:DWORD src1_sel:WORD_1
	v_fma_f16 v101, v31, v17, v28
	s_waitcnt lgkmcnt(7)
	v_mul_f16_sdwa v28, v33, v18 dst_sel:DWORD dst_unused:UNUSED_PAD src0_sel:DWORD src1_sel:WORD_1
	v_fma_f16 v102, v35, v18, -v28
	v_mul_f16_sdwa v35, v35, v18 dst_sel:DWORD dst_unused:UNUSED_PAD src0_sel:DWORD src1_sel:WORD_1
	v_fma_f16 v104, v33, v18, v35
	v_mul_f16_sdwa v33, v32, v19 dst_sel:DWORD dst_unused:UNUSED_PAD src0_sel:DWORD src1_sel:WORD_1
	v_fma_f16 v105, v34, v19, -v33
	v_mul_f16_sdwa v33, v34, v19 dst_sel:DWORD dst_unused:UNUSED_PAD src0_sel:DWORD src1_sel:WORD_1
	v_fma_f16 v106, v32, v19, v33
	s_waitcnt vmcnt(4) lgkmcnt(5)
	v_mul_f16_sdwa v32, v88, v38 dst_sel:DWORD dst_unused:UNUSED_PAD src0_sel:DWORD src1_sel:WORD_1
	v_fma_f16 v107, v77, v38, -v32
	v_mul_f16_sdwa v32, v77, v38 dst_sel:DWORD dst_unused:UNUSED_PAD src0_sel:DWORD src1_sel:WORD_1
	v_fma_f16 v77, v88, v38, v32
	v_mul_f16_sdwa v32, v40, v16 dst_sel:DWORD dst_unused:UNUSED_PAD src0_sel:DWORD src1_sel:WORD_1
	v_mul_u32_u24_sdwa v28, v1, s6 dst_sel:DWORD dst_unused:UNUSED_PAD src0_sel:WORD_0 src1_sel:DWORD
	v_fma_f16 v88, v36, v16, -v32
	v_mul_u32_u24_sdwa v32, v12, s6 dst_sel:DWORD dst_unused:UNUSED_PAD src0_sel:WORD_0 src1_sel:DWORD
	v_lshrrev_b32_e32 v28, 21, v28
	v_lshrrev_b32_e32 v32, 21, v32
	v_mul_lo_u16_e32 v28, 60, v28
	v_mul_lo_u16_e32 v32, 60, v32
	v_sub_u16_e32 v1, v1, v28
	v_sub_u16_e32 v108, v12, v32
	v_mul_u32_u24_e32 v28, 5, v1
	v_mul_u32_u24_e32 v32, 5, v108
	v_lshlrev_b32_e32 v103, 2, v28
	global_load_dwordx4 v[28:31], v103, s[12:13] offset:200
	v_lshlrev_b32_e32 v109, 2, v32
	global_load_dword v103, v103, s[12:13] offset:216
	v_mul_f16_sdwa v36, v36, v16 dst_sel:DWORD dst_unused:UNUSED_PAD src0_sel:DWORD src1_sel:WORD_1
	global_load_dwordx4 v[32:35], v109, s[12:13] offset:200
	v_fma_f16 v16, v40, v16, v36
	v_mul_f16_sdwa v36, v44, v17 dst_sel:DWORD dst_unused:UNUSED_PAD src0_sel:DWORD src1_sel:WORD_1
	v_fma_f16 v36, v39, v17, -v36
	v_mul_f16_sdwa v39, v39, v17 dst_sel:DWORD dst_unused:UNUSED_PAD src0_sel:DWORD src1_sel:WORD_1
	v_fma_f16 v17, v44, v17, v39
	v_mul_f16_sdwa v39, v80, v18 dst_sel:DWORD dst_unused:UNUSED_PAD src0_sel:DWORD src1_sel:WORD_1
	v_mul_f16_sdwa v40, v68, v18 dst_sel:DWORD dst_unused:UNUSED_PAD src0_sel:DWORD src1_sel:WORD_1
	v_fma_f16 v39, v68, v18, -v39
	v_fma_f16 v18, v80, v18, v40
	v_mul_f16_sdwa v40, v67, v19 dst_sel:DWORD dst_unused:UNUSED_PAD src0_sel:DWORD src1_sel:WORD_1
	v_fma_f16 v40, v58, v19, -v40
	v_mul_f16_sdwa v44, v58, v19 dst_sel:DWORD dst_unused:UNUSED_PAD src0_sel:DWORD src1_sel:WORD_1
	global_load_dword v58, v109, s[12:13] offset:216
	v_fma_f16 v19, v67, v19, v44
	v_mul_f16_sdwa v44, v43, v38 dst_sel:DWORD dst_unused:UNUSED_PAD src0_sel:DWORD src1_sel:WORD_1
	v_fma_f16 v44, v37, v38, -v44
	v_mul_f16_sdwa v37, v37, v38 dst_sel:DWORD dst_unused:UNUSED_PAD src0_sel:DWORD src1_sel:WORD_1
	v_fma_f16 v37, v43, v38, v37
	s_waitcnt vmcnt(7)
	v_mul_f16_sdwa v38, v61, v20 dst_sel:DWORD dst_unused:UNUSED_PAD src0_sel:DWORD src1_sel:WORD_1
	v_mul_f16_sdwa v43, v49, v20 dst_sel:DWORD dst_unused:UNUSED_PAD src0_sel:DWORD src1_sel:WORD_1
	v_fma_f16 v38, v49, v20, -v38
	v_fma_f16 v20, v61, v20, v43
	v_mul_f16_sdwa v43, v46, v21 dst_sel:DWORD dst_unused:UNUSED_PAD src0_sel:DWORD src1_sel:WORD_1
	v_fma_f16 v43, v41, v21, -v43
	v_mul_f16_sdwa v41, v41, v21 dst_sel:DWORD dst_unused:UNUSED_PAD src0_sel:DWORD src1_sel:WORD_1
	s_waitcnt vmcnt(5)
	v_mul_f16_sdwa v61, v62, v24 dst_sel:DWORD dst_unused:UNUSED_PAD src0_sel:DWORD src1_sel:WORD_1
	v_fma_f16 v21, v46, v21, v41
	v_mul_f16_sdwa v41, v81, v22 dst_sel:DWORD dst_unused:UNUSED_PAD src0_sel:DWORD src1_sel:WORD_1
	v_mul_f16_sdwa v46, v69, v22 dst_sel:DWORD dst_unused:UNUSED_PAD src0_sel:DWORD src1_sel:WORD_1
	v_fma_f16 v61, v50, v24, -v61
	v_mul_f16_sdwa v50, v50, v24 dst_sel:DWORD dst_unused:UNUSED_PAD src0_sel:DWORD src1_sel:WORD_1
	v_fma_f16 v41, v69, v22, -v41
	v_fma_f16 v22, v81, v22, v46
	v_mul_f16_sdwa v46, v70, v23 dst_sel:DWORD dst_unused:UNUSED_PAD src0_sel:DWORD src1_sel:WORD_1
	v_mul_f16_sdwa v49, v59, v23 dst_sel:DWORD dst_unused:UNUSED_PAD src0_sel:DWORD src1_sel:WORD_1
	v_fma_f16 v24, v62, v24, v50
	v_mul_f16_sdwa v50, v48, v25 dst_sel:DWORD dst_unused:UNUSED_PAD src0_sel:DWORD src1_sel:WORD_1
	v_fma_f16 v46, v59, v23, -v46
	v_fma_f16 v23, v70, v23, v49
	v_fma_f16 v50, v42, v25, -v50
	v_mul_f16_sdwa v42, v42, v25 dst_sel:DWORD dst_unused:UNUSED_PAD src0_sel:DWORD src1_sel:WORD_1
	v_fma_f16 v25, v48, v25, v42
	v_mul_f16_sdwa v42, v82, v26 dst_sel:DWORD dst_unused:UNUSED_PAD src0_sel:DWORD src1_sel:WORD_1
	v_fma_f16 v42, v71, v26, -v42
	v_mul_f16_sdwa v48, v71, v26 dst_sel:DWORD dst_unused:UNUSED_PAD src0_sel:DWORD src1_sel:WORD_1
	v_fma_f16 v26, v82, v26, v48
	v_mul_f16_sdwa v48, v72, v27 dst_sel:DWORD dst_unused:UNUSED_PAD src0_sel:DWORD src1_sel:WORD_1
	v_fma_f16 v48, v60, v27, -v48
	v_mul_f16_sdwa v60, v60, v27 dst_sel:DWORD dst_unused:UNUSED_PAD src0_sel:DWORD src1_sel:WORD_1
	v_fma_f16 v27, v72, v27, v60
	v_sub_f16_e32 v81, v102, v107
	s_waitcnt vmcnt(4) lgkmcnt(2)
	v_mul_f16_sdwa v60, v95, v93 dst_sel:DWORD dst_unused:UNUSED_PAD src0_sel:DWORD src1_sel:WORD_1
	v_fma_f16 v60, v87, v93, -v60
	v_mul_f16_sdwa v62, v87, v93 dst_sel:DWORD dst_unused:UNUSED_PAD src0_sel:DWORD src1_sel:WORD_1
	v_mul_f16_sdwa v49, v94, v90 dst_sel:DWORD dst_unused:UNUSED_PAD src0_sel:DWORD src1_sel:WORD_1
	v_fma_f16 v49, v84, v90, -v49
	v_mul_f16_sdwa v59, v84, v90 dst_sel:DWORD dst_unused:UNUSED_PAD src0_sel:DWORD src1_sel:WORD_1
	v_fma_f16 v59, v94, v90, v59
	v_fma_f16 v62, v95, v93, v62
	v_lshl_add_u32 v1, v1, 1, 0
	s_waitcnt lgkmcnt(0)
	; wave barrier
	s_waitcnt vmcnt(3) lgkmcnt(0)
	v_mul_f16_sdwa v67, v63, v28 dst_sel:DWORD dst_unused:UNUSED_PAD src0_sel:DWORD src1_sel:WORD_1
	v_fma_f16 v67, v55, v28, -v67
	v_mul_f16_sdwa v55, v55, v28 dst_sel:DWORD dst_unused:UNUSED_PAD src0_sel:DWORD src1_sel:WORD_1
	v_fma_f16 v28, v63, v28, v55
	s_waitcnt vmcnt(1)
	v_mul_f16_sdwa v68, v78, v32 dst_sel:DWORD dst_unused:UNUSED_PAD src0_sel:DWORD src1_sel:WORD_1
	v_fma_f16 v68, v65, v32, -v68
	v_mul_f16_sdwa v65, v65, v32 dst_sel:DWORD dst_unused:UNUSED_PAD src0_sel:DWORD src1_sel:WORD_1
	v_fma_f16 v32, v78, v32, v65
	v_mul_f16_sdwa v65, v86, v33 dst_sel:DWORD dst_unused:UNUSED_PAD src0_sel:DWORD src1_sel:WORD_1
	v_mul_f16_sdwa v69, v76, v33 dst_sel:DWORD dst_unused:UNUSED_PAD src0_sel:DWORD src1_sel:WORD_1
	v_fma_f16 v65, v76, v33, -v65
	v_fma_f16 v33, v86, v33, v69
	v_mul_f16_sdwa v69, v85, v34 dst_sel:DWORD dst_unused:UNUSED_PAD src0_sel:DWORD src1_sel:WORD_1
	v_mul_f16_sdwa v70, v75, v34 dst_sel:DWORD dst_unused:UNUSED_PAD src0_sel:DWORD src1_sel:WORD_1
	v_fma_f16 v69, v75, v34, -v69
	v_fma_f16 v34, v85, v34, v70
	v_mul_f16_sdwa v70, v89, v35 dst_sel:DWORD dst_unused:UNUSED_PAD src0_sel:DWORD src1_sel:WORD_1
	v_add_f16_e32 v78, v102, v107
	v_mul_f16_sdwa v55, v66, v29 dst_sel:DWORD dst_unused:UNUSED_PAD src0_sel:DWORD src1_sel:WORD_1
	v_fma_f16 v70, v79, v35, -v70
	v_mul_f16_sdwa v71, v79, v35 dst_sel:DWORD dst_unused:UNUSED_PAD src0_sel:DWORD src1_sel:WORD_1
	v_fma_f16 v78, v78, -0.5, v98
	v_sub_f16_e32 v79, v104, v77
	v_fma_f16 v55, v56, v29, -v55
	v_mul_f16_sdwa v56, v56, v29 dst_sel:DWORD dst_unused:UNUSED_PAD src0_sel:DWORD src1_sel:WORD_1
	v_fma_f16 v80, v79, s4, v78
	v_fma_f16 v78, v79, s5, v78
	v_add_f16_e32 v79, v99, v104
	v_fma_f16 v29, v66, v29, v56
	v_mul_f16_sdwa v56, v83, v30 dst_sel:DWORD dst_unused:UNUSED_PAD src0_sel:DWORD src1_sel:WORD_1
	v_mul_f16_sdwa v63, v73, v30 dst_sel:DWORD dst_unused:UNUSED_PAD src0_sel:DWORD src1_sel:WORD_1
	v_add_f16_e32 v79, v79, v77
	v_add_f16_e32 v77, v104, v77
	v_fma_f16 v56, v73, v30, -v56
	v_fma_f16 v30, v83, v30, v63
	v_mul_f16_sdwa v63, v74, v31 dst_sel:DWORD dst_unused:UNUSED_PAD src0_sel:DWORD src1_sel:WORD_1
	v_fma_f16 v35, v89, v35, v71
	s_waitcnt vmcnt(0)
	v_mul_f16_sdwa v71, v97, v58 dst_sel:DWORD dst_unused:UNUSED_PAD src0_sel:DWORD src1_sel:WORD_1
	v_mul_f16_sdwa v72, v92, v58 dst_sel:DWORD dst_unused:UNUSED_PAD src0_sel:DWORD src1_sel:WORD_1
	v_add_f16_e32 v73, v100, v105
	v_fma_f16 v77, v77, -0.5, v99
	v_fma_f16 v63, v64, v31, -v63
	v_mul_f16_sdwa v64, v64, v31 dst_sel:DWORD dst_unused:UNUSED_PAD src0_sel:DWORD src1_sel:WORD_1
	v_fma_f16 v71, v92, v58, -v71
	v_fma_f16 v58, v97, v58, v72
	v_add_f16_e32 v72, v45, v100
	v_fma_f16 v45, v73, -0.5, v45
	v_sub_f16_e32 v73, v101, v106
	v_add_f16_e32 v75, v101, v106
	v_fma_f16 v82, v81, s5, v77
	v_fma_f16 v31, v74, v31, v64
	;; [unrolled: 1-line block ×4, first 2 shown]
	v_add_f16_e32 v73, v51, v101
	v_fma_f16 v51, v75, -0.5, v51
	v_sub_f16_e32 v75, v100, v105
	v_fma_f16 v77, v81, s4, v77
	v_mul_f16_e32 v83, 0x3aee, v82
	v_mul_f16_e32 v85, -0.5, v78
	v_fma_f16 v76, v75, s5, v51
	v_fma_f16 v51, v75, s4, v51
	v_add_f16_e32 v75, v98, v102
	v_fma_f16 v83, v80, 0.5, v83
	v_fma_f16 v85, v77, s4, v85
	v_mul_f16_e32 v80, 0xbaee, v80
	v_mul_f16_e32 v77, -0.5, v77
	v_add_f16_e32 v72, v72, v105
	v_add_f16_e32 v75, v75, v107
	v_fma_f16 v80, v82, 0.5, v80
	v_fma_f16 v77, v78, s5, v77
	v_add_f16_e32 v81, v72, v75
	v_add_f16_e32 v82, v76, v80
	;; [unrolled: 1-line block ×3, first 2 shown]
	v_sub_f16_e32 v72, v72, v75
	v_sub_f16_e32 v75, v76, v80
	;; [unrolled: 1-line block ×3, first 2 shown]
	v_add_f16_e32 v77, v36, v40
	v_add_f16_e32 v73, v73, v106
	;; [unrolled: 1-line block ×3, first 2 shown]
	v_fma_f16 v47, v77, -0.5, v47
	v_sub_f16_e32 v77, v17, v19
	v_add_f16_e32 v87, v73, v79
	v_sub_f16_e32 v73, v73, v79
	v_fma_f16 v79, v77, s4, v47
	v_fma_f16 v47, v77, s5, v47
	v_add_f16_e32 v77, v52, v17
	v_add_f16_e32 v51, v51, v40
	;; [unrolled: 1-line block ×4, first 2 shown]
	v_sub_f16_e32 v19, v36, v40
	v_add_f16_e32 v40, v39, v44
	v_fma_f16 v17, v17, -0.5, v52
	v_fma_f16 v40, v40, -0.5, v88
	v_sub_f16_e32 v52, v18, v37
	v_fma_f16 v80, v52, s4, v40
	v_fma_f16 v40, v52, s5, v40
	v_add_f16_e32 v52, v16, v18
	v_add_f16_e32 v18, v18, v37
	v_fma_f16 v16, v18, -0.5, v16
	v_sub_f16_e32 v18, v39, v44
	v_add_f16_e32 v84, v74, v83
	v_sub_f16_e32 v74, v74, v83
	v_add_f16_e32 v52, v52, v37
	v_fma_f16 v37, v18, s5, v16
	v_fma_f16 v16, v18, s4, v16
	v_mul_f16_e32 v83, -0.5, v40
	v_fma_f16 v36, v19, s5, v17
	v_fma_f16 v17, v19, s4, v17
	v_add_f16_e32 v19, v88, v39
	v_mul_f16_e32 v39, 0x3aee, v37
	v_fma_f16 v83, v16, s4, v83
	v_mul_f16_e32 v16, -0.5, v16
	v_fma_f16 v39, v80, 0.5, v39
	v_fma_f16 v16, v40, s5, v16
	v_add_f16_e32 v19, v19, v44
	v_add_f16_e32 v44, v79, v39
	v_mul_f16_e32 v80, 0xbaee, v80
	v_add_f16_e32 v89, v17, v16
	v_sub_f16_e32 v39, v79, v39
	v_sub_f16_e32 v79, v17, v16
	v_add_f16_e32 v17, v43, v46
	v_fma_f16 v37, v37, 0.5, v80
	v_add_f16_e32 v16, v14, v43
	v_fma_f16 v14, v17, -0.5, v14
	v_sub_f16_e32 v17, v21, v23
	v_add_f16_e32 v88, v77, v52
	v_add_f16_e32 v80, v36, v37
	v_sub_f16_e32 v52, v77, v52
	v_sub_f16_e32 v77, v36, v37
	v_fma_f16 v36, v17, s4, v14
	v_fma_f16 v14, v17, s5, v14
	v_add_f16_e32 v17, v53, v21
	v_add_f16_e32 v21, v21, v23
	;; [unrolled: 1-line block ×3, first 2 shown]
	v_fma_f16 v21, v21, -0.5, v53
	v_sub_f16_e32 v23, v43, v46
	v_add_f16_e32 v43, v41, v49
	v_fma_f16 v37, v23, s5, v21
	v_fma_f16 v21, v23, s4, v21
	v_add_f16_e32 v23, v38, v41
	v_fma_f16 v38, v43, -0.5, v38
	v_sub_f16_e32 v43, v22, v59
	v_add_f16_e32 v16, v16, v46
	v_fma_f16 v46, v43, s4, v38
	v_fma_f16 v38, v43, s5, v38
	v_add_f16_e32 v43, v20, v22
	v_add_f16_e32 v22, v22, v59
	v_fma_f16 v20, v22, -0.5, v20
	v_sub_f16_e32 v22, v41, v49
	v_fma_f16 v41, v22, s5, v20
	v_add_f16_e32 v86, v45, v85
	v_sub_f16_e32 v45, v45, v85
	v_add_f16_e32 v18, v51, v19
	v_add_f16_e32 v85, v47, v83
	v_sub_f16_e32 v19, v51, v19
	v_sub_f16_e32 v40, v47, v83
	v_fma_f16 v20, v22, s4, v20
	v_mul_f16_e32 v47, 0x3aee, v41
	v_mul_f16_e32 v51, -0.5, v38
	v_fma_f16 v47, v46, 0.5, v47
	v_fma_f16 v51, v20, s4, v51
	v_mul_f16_e32 v46, 0xbaee, v46
	v_mul_f16_e32 v20, -0.5, v20
	v_mul_f16_sdwa v64, v96, v103 dst_sel:DWORD dst_unused:UNUSED_PAD src0_sel:DWORD src1_sel:WORD_1
	v_fma_f16 v41, v41, 0.5, v46
	v_fma_f16 v20, v38, s5, v20
	v_fma_f16 v64, v91, v103, -v64
	v_mul_f16_sdwa v66, v91, v103 dst_sel:DWORD dst_unused:UNUSED_PAD src0_sel:DWORD src1_sel:WORD_1
	v_add_f16_e32 v43, v43, v59
	v_add_f16_e32 v46, v37, v41
	;; [unrolled: 1-line block ×3, first 2 shown]
	v_sub_f16_e32 v91, v37, v41
	v_sub_f16_e32 v92, v21, v20
	v_add_f16_e32 v20, v50, v48
	v_add_f16_e32 v37, v42, v60
	;; [unrolled: 1-line block ×3, first 2 shown]
	v_sub_f16_e32 v90, v17, v43
	v_add_f16_e32 v17, v9, v50
	v_fma_f16 v9, v20, -0.5, v9
	v_sub_f16_e32 v20, v25, v27
	v_fma_f16 v37, v37, -0.5, v61
	v_sub_f16_e32 v38, v26, v62
	v_fma_f16 v21, v20, s4, v9
	v_fma_f16 v9, v20, s5, v9
	v_add_f16_e32 v20, v54, v25
	v_add_f16_e32 v25, v25, v27
	v_fma_f16 v41, v38, s4, v37
	v_fma_f16 v37, v38, s5, v37
	v_add_f16_e32 v38, v24, v26
	v_add_f16_e32 v26, v26, v62
	;; [unrolled: 1-line block ×4, first 2 shown]
	v_fma_f16 v25, v25, -0.5, v54
	v_sub_f16_e32 v27, v50, v48
	v_fma_f16 v24, v26, -0.5, v24
	v_sub_f16_e32 v26, v42, v60
	v_add_f16_e32 v22, v16, v23
	v_add_f16_e32 v49, v36, v47
	v_sub_f16_e32 v16, v16, v23
	v_sub_f16_e32 v23, v36, v47
	v_fma_f16 v36, v27, s5, v25
	v_fma_f16 v25, v27, s4, v25
	v_add_f16_e32 v27, v61, v42
	v_fma_f16 v42, v26, s5, v24
	v_mul_f16_e32 v43, 0x3aee, v42
	v_fma_f16 v43, v41, 0.5, v43
	v_mul_f16_e32 v41, 0xbaee, v41
	v_add_f16_e32 v17, v17, v48
	v_fma_f16 v24, v26, s4, v24
	v_mul_f16_e32 v48, -0.5, v37
	v_fma_f16 v41, v42, 0.5, v41
	v_fma_f16 v66, v96, v103, v66
	v_add_f16_e32 v27, v27, v60
	v_fma_f16 v48, v24, s4, v48
	v_add_f16_e32 v60, v36, v41
	v_mul_f16_e32 v24, -0.5, v24
	v_sub_f16_e32 v93, v36, v41
	v_add_f16_e32 v36, v56, v64
	v_add_f16_e32 v38, v38, v62
	v_fma_f16 v24, v37, s5, v24
	v_fma_f16 v36, v36, -0.5, v67
	v_sub_f16_e32 v37, v30, v66
	v_add_f16_e32 v54, v20, v38
	v_sub_f16_e32 v62, v20, v38
	v_fma_f16 v38, v37, s4, v36
	v_fma_f16 v36, v37, s5, v36
	v_add_f16_e32 v37, v28, v30
	v_add_f16_e32 v30, v30, v66
	;; [unrolled: 1-line block ×3, first 2 shown]
	v_sub_f16_e32 v94, v25, v24
	v_add_f16_e32 v24, v55, v63
	v_fma_f16 v28, v30, -0.5, v28
	v_sub_f16_e32 v30, v56, v64
	v_add_f16_e32 v26, v17, v27
	v_add_f16_e32 v50, v9, v48
	v_sub_f16_e32 v17, v17, v27
	v_sub_f16_e32 v9, v9, v48
	v_add_f16_e32 v20, v8, v55
	v_fma_f16 v8, v24, -0.5, v8
	v_sub_f16_e32 v24, v29, v31
	v_add_f16_e32 v27, v29, v31
	v_fma_f16 v41, v30, s5, v28
	v_fma_f16 v28, v30, s4, v28
	v_mul_f16_e32 v48, -0.5, v36
	v_fma_f16 v25, v24, s4, v8
	v_fma_f16 v8, v24, s5, v8
	v_add_f16_e32 v24, v57, v29
	v_fma_f16 v27, v27, -0.5, v57
	v_sub_f16_e32 v29, v55, v63
	v_fma_f16 v48, v28, s4, v48
	v_mul_f16_e32 v28, -0.5, v28
	v_add_f16_e32 v24, v24, v31
	v_fma_f16 v31, v29, s5, v27
	v_fma_f16 v27, v29, s4, v27
	;; [unrolled: 1-line block ×3, first 2 shown]
	v_add_f16_e32 v29, v67, v56
	v_add_f16_e32 v37, v37, v66
	;; [unrolled: 1-line block ×3, first 2 shown]
	v_sub_f16_e32 v66, v27, v28
	v_add_f16_e32 v27, v65, v70
	v_add_f16_e32 v20, v20, v63
	;; [unrolled: 1-line block ×4, first 2 shown]
	v_sub_f16_e32 v63, v24, v37
	v_add_f16_e32 v24, v3, v65
	v_fma_f16 v3, v27, -0.5, v3
	v_sub_f16_e32 v27, v33, v35
	v_add_f16_e32 v30, v20, v29
	v_sub_f16_e32 v20, v20, v29
	v_fma_f16 v28, v27, s4, v3
	v_fma_f16 v3, v27, s5, v3
	v_add_f16_e32 v27, v15, v33
	v_add_f16_e32 v29, v33, v35
	;; [unrolled: 1-line block ×4, first 2 shown]
	v_fma_f16 v33, v33, -0.5, v68
	v_sub_f16_e32 v35, v34, v58
	v_mul_f16_e32 v42, 0x3aee, v41
	v_fma_f16 v36, v35, s4, v33
	v_fma_f16 v33, v35, s5, v33
	v_add_f16_e32 v35, v32, v34
	v_add_f16_e32 v34, v34, v58
	v_fma_f16 v42, v38, 0.5, v42
	v_mul_f16_e32 v38, 0xbaee, v38
	v_fma_f16 v32, v34, -0.5, v32
	v_sub_f16_e32 v34, v69, v71
	v_fma_f16 v38, v41, 0.5, v38
	v_fma_f16 v15, v29, -0.5, v15
	v_sub_f16_e32 v29, v65, v70
	v_fma_f16 v37, v34, s5, v32
	v_add_f16_e32 v47, v21, v43
	v_sub_f16_e32 v21, v21, v43
	v_add_f16_e32 v43, v25, v42
	v_add_f16_e32 v56, v31, v38
	v_sub_f16_e32 v25, v25, v42
	v_sub_f16_e32 v64, v31, v38
	v_fma_f16 v31, v29, s5, v15
	v_fma_f16 v15, v29, s4, v15
	v_add_f16_e32 v29, v68, v69
	v_fma_f16 v32, v34, s4, v32
	v_mul_f16_e32 v38, 0x3aee, v37
	v_mul_f16_e32 v42, -0.5, v33
	v_add_f16_e32 v53, v14, v51
	v_sub_f16_e32 v14, v14, v51
	v_add_f16_e32 v51, v8, v48
	v_sub_f16_e32 v8, v8, v48
	v_add_f16_e32 v24, v24, v70
	v_add_f16_e32 v29, v29, v71
	v_fma_f16 v38, v36, 0.5, v38
	v_fma_f16 v42, v32, s4, v42
	v_mul_f16_e32 v36, 0xbaee, v36
	v_mul_f16_e32 v32, -0.5, v32
	v_add_f16_e32 v35, v35, v58
	v_add_f16_e32 v34, v24, v29
	;; [unrolled: 1-line block ×4, first 2 shown]
	v_fma_f16 v36, v37, 0.5, v36
	v_fma_f16 v32, v33, s5, v32
	v_sub_f16_e32 v24, v24, v29
	v_sub_f16_e32 v28, v28, v38
	ds_write_b16 v11, v81
	ds_write_b16 v11, v84 offset:120
	ds_write_b16 v11, v86 offset:240
	;; [unrolled: 1-line block ×29, first 2 shown]
	v_lshl_add_u32 v8, v108, 1, 0
	v_add_f16_e32 v58, v27, v35
	v_add_f16_e32 v65, v31, v36
	;; [unrolled: 1-line block ×3, first 2 shown]
	v_sub_f16_e32 v3, v3, v42
	v_sub_f16_e32 v68, v27, v35
	;; [unrolled: 1-line block ×4, first 2 shown]
	ds_write_b16 v8, v34 offset:3600
	ds_write_b16 v8, v41 offset:3720
	;; [unrolled: 1-line block ×6, first 2 shown]
	s_waitcnt lgkmcnt(0)
	; wave barrier
	s_waitcnt lgkmcnt(0)
	ds_read_u16 v21, v11 offset:840
	ds_read_u16 v22, v11 offset:3720
	;; [unrolled: 1-line block ×5, first 2 shown]
	ds_read_u16 v14, v11
	ds_read_u16 v20, v11 offset:120
	ds_read_u16 v26, v11 offset:240
	ds_read_u16 v32, v11 offset:360
	ds_read_u16 v43, v11 offset:480
	ds_read_u16 v27, v11 offset:960
	ds_read_u16 v33, v11 offset:1080
	ds_read_u16 v47, v11 offset:1200
	ds_read_u16 v49, v11 offset:1920
	ds_read_u16 v16, v11 offset:2880
	ds_read_u16 v25, v11 offset:3000
	ds_read_u16 v30, v11 offset:3120
	ds_read_u16 v38, v11 offset:3240
	ds_read_u16 v51, v11 offset:3360
	ds_read_u16 v15, v11 offset:720
	ds_read_u16 v35, v11 offset:600
	ds_read_u16 v19, v11 offset:1440
	ds_read_u16 v39, v11 offset:1320
	ds_read_u16 v24, v11 offset:2280
	ds_read_u16 v29, v11 offset:2400
	ds_read_u16 v36, v11 offset:2520
	ds_read_u16 v48, v11 offset:2640
	ds_read_u16 v40, v11 offset:2760
	ds_read_u16 v17, v11 offset:2160
	ds_read_u16 v41, v11 offset:2040
	ds_read_u16 v18, v11 offset:3600
	ds_read_u16 v42, v11 offset:3480
	ds_read_u16 v31, v11 offset:3840
	ds_read_u16 v37, v11 offset:3960
	ds_read_u16 v50, v11 offset:4080
	ds_read_u16 v44, v11 offset:4200
	s_waitcnt lgkmcnt(0)
	; wave barrier
	s_waitcnt lgkmcnt(0)
	ds_write_b16 v11, v87
	ds_write_b16 v11, v82 offset:120
	ds_write_b16 v11, v78 offset:240
	;; [unrolled: 1-line block ×35, first 2 shown]
	s_waitcnt lgkmcnt(0)
	; wave barrier
	s_waitcnt lgkmcnt(0)
	s_and_saveexec_b64 s[6:7], s[0:1]
	s_cbranch_execz .LBB0_21
; %bb.20:
	v_mul_u32_u24_e32 v0, 5, v12
	v_lshlrev_b32_e32 v8, 2, v0
	global_load_dwordx4 v[0:3], v8, s[12:13] offset:1400
	global_load_dword v45, v8, s[12:13] offset:1416
	v_mul_lo_u32 v54, s3, v6
	v_mad_u64_u32 v[8:9], s[0:1], s2, v6, 0
	v_mov_b32_e32 v6, 0xfffffed4
	v_mul_lo_u32 v55, s2, v7
	v_mov_b32_e32 v7, 0
	v_mad_u32_u24 v6, v12, 5, v6
	v_mov_b32_e32 v46, s13
	v_add_co_u32_e32 v66, vcc, s12, v13
	v_lshlrev_b64 v[52:53], 2, v[6:7]
	ds_read_u16 v58, v11 offset:2760
	ds_read_u16 v62, v11 offset:2640
	;; [unrolled: 1-line block ×24, first 2 shown]
	v_addc_co_u32_e32 v67, vcc, 0, v46, vcc
	v_add_co_u32_e32 v56, vcc, s12, v52
	v_addc_co_u32_e32 v57, vcc, v46, v53, vcc
	v_add3_u32 v9, v9, v55, v54
	global_load_dwordx4 v[52:55], v[56:57], off offset:1400
	global_load_dword v84, v[56:57], off offset:1416
	ds_read_u16 v95, v11 offset:3840
	s_mov_b32 s0, 0x16c16c17
	v_lshlrev_b64 v[8:9], 2, v[8:9]
	v_lshlrev_b64 v[4:5], 2, v[4:5]
	s_movk_i32 s1, 0x1000
	ds_read_u16 v91, v11 offset:3960
	s_waitcnt vmcnt(3)
	v_lshrrev_b32_e32 v56, 16, v2
	s_waitcnt vmcnt(2)
	v_lshrrev_b32_e32 v87, 16, v45
	v_lshrrev_b32_e32 v6, 16, v0
	;; [unrolled: 1-line block ×3, first 2 shown]
	s_waitcnt lgkmcnt(14)
	v_mul_f16_e32 v85, v1, v59
	v_mul_f16_e32 v88, v2, v58
	s_waitcnt lgkmcnt(3)
	v_mul_f16_e32 v89, v45, v82
	v_mul_f16_e32 v58, v56, v58
	;; [unrolled: 1-line block ×5, first 2 shown]
	v_fma_f16 v13, v41, v13, v85
	v_mul_f16_e32 v68, v6, v68
	v_fma_f16 v56, v40, v56, v88
	v_fma_f16 v85, v44, v87, v89
	v_fma_f16 v40, v40, v2, -v58
	v_fma_f16 v44, v44, v45, -v82
	v_lshrrev_b32_e32 v57, 16, v3
	v_mul_f16_e32 v86, v3, v60
	v_fma_f16 v6, v39, v6, v90
	v_fma_f16 v39, v39, v0, -v68
	v_add_f16_e32 v45, v40, v44
	v_mul_f16_e32 v60, v57, v60
	v_fma_f16 v57, v42, v57, v86
	v_sub_f16_e32 v2, v56, v85
	v_fma_f16 v45, v45, -0.5, v39
	v_fma_f16 v41, v41, v1, -v59
	v_add_f16_e32 v1, v13, v57
	v_add_f16_e32 v0, v56, v85
	v_fma_f16 v82, v2, s5, v45
	v_fma_f16 v45, v2, s4, v45
	v_add_f16_e32 v2, v13, v61
	v_fma_f16 v42, v42, v3, -v60
	v_fma_f16 v1, v1, -0.5, v61
	v_sub_f16_e32 v58, v40, v44
	v_fma_f16 v0, v0, -0.5, v6
	v_add_f16_e32 v61, v57, v2
	v_add_f16_e32 v2, v6, v56
	v_fma_f16 v60, v58, s4, v0
	v_add_f16_e32 v6, v2, v85
	v_add_f16_e32 v2, v41, v42
	v_fma_f16 v58, v58, s5, v0
	v_mul_f16_e32 v0, -0.5, v60
	v_fma_f16 v56, v2, -0.5, v35
	v_add_f16_e32 v35, v35, v41
	v_sub_f16_e32 v3, v41, v42
	v_fma_f16 v86, v82, s5, v0
	v_sub_f16_e32 v13, v13, v57
	v_mul_f16_e32 v2, -0.5, v82
	v_add_f16_e32 v82, v35, v42
	v_add_f16_e32 v35, v39, v40
	v_fma_f16 v59, v3, s4, v1
	v_fma_f16 v68, v3, s5, v1
	v_sub_f16_e32 v3, v61, v6
	v_fma_f16 v57, v13, s5, v56
	v_fma_f16 v56, v13, s4, v56
	v_mul_f16_e32 v13, 0x3aee, v58
	v_add_f16_e32 v85, v35, v44
	v_add_f16_e32 v44, v61, v6
	v_mov_b32_e32 v6, 0xfffffda8
	v_mul_f16_e32 v1, 0xbaee, v45
	v_fma_f16 v60, v60, s4, v2
	v_fma_f16 v45, v45, 0.5, v13
	v_mad_u32_u24 v6, v12, 5, v6
	v_sub_f16_e32 v2, v57, v60
	v_sub_f16_e32 v13, v56, v45
	v_add_f16_e32 v40, v57, v60
	v_add_f16_e32 v42, v56, v45
	v_lshlrev_b64 v[56:57], 2, v[6:7]
	v_sub_f16_e32 v0, v59, v86
	v_add_co_u32_e32 v56, vcc, s12, v56
	v_addc_co_u32_e32 v57, vcc, v46, v57, vcc
	v_fma_f16 v87, v58, 0.5, v1
	v_add_f16_e32 v39, v59, v86
	global_load_dwordx4 v[58:61], v[56:57], off offset:1400
	global_load_dword v94, v[56:57], off offset:1416
	v_sub_f16_e32 v1, v68, v87
	v_add_f16_e32 v41, v68, v87
	s_waitcnt vmcnt(3)
	v_lshrrev_b32_e32 v68, 16, v53
	v_mul_f16_e32 v86, v68, v63
	v_sub_f16_e32 v35, v82, v85
	v_add_f16_e32 v45, v82, v85
	v_lshrrev_b32_e32 v82, 16, v54
	v_lshrrev_b32_e32 v85, 16, v55
	v_fma_f16 v86, v49, v53, -v86
	v_mul_f16_e32 v53, v53, v63
	v_mul_f16_e32 v88, v85, v64
	v_fma_f16 v53, v49, v68, v53
	v_mul_f16_e32 v49, v55, v64
	v_mul_f16_e32 v64, v82, v62
	v_lshrrev_b32_e32 v6, 16, v52
	v_fma_f16 v64, v48, v54, -v64
	s_waitcnt vmcnt(2)
	v_lshrrev_b32_e32 v68, 16, v84
	v_mul_f16_e32 v54, v54, v62
	v_mul_f16_e32 v63, v6, v69
	s_waitcnt lgkmcnt(2)
	v_mul_f16_e32 v92, v68, v83
	v_fma_f16 v48, v48, v82, v54
	v_mul_f16_e32 v54, v84, v83
	v_fma_f16 v88, v51, v55, -v88
	v_fma_f16 v51, v51, v85, v49
	v_fma_f16 v63, v47, v52, -v63
	v_fma_f16 v92, v50, v84, -v92
	v_fma_f16 v50, v50, v68, v54
	v_mul_f16_e32 v52, v52, v69
	v_add_f16_e32 v49, v53, v51
	v_fma_f16 v6, v47, v6, v52
	v_add_f16_e32 v47, v48, v50
	v_fma_f16 v49, v49, -0.5, v65
	v_add_f16_e32 v93, v64, v92
	v_sub_f16_e32 v54, v48, v50
	v_sub_f16_e32 v57, v64, v92
	v_fma_f16 v52, v47, -0.5, v6
	v_add_f16_e32 v65, v53, v65
	v_add_f16_e32 v6, v6, v48
	;; [unrolled: 1-line block ×3, first 2 shown]
	v_fma_f16 v93, v93, -0.5, v63
	v_fma_f16 v62, v57, s4, v52
	v_fma_f16 v52, v57, s5, v52
	v_add_f16_e32 v65, v51, v65
	v_fma_f16 v82, v48, -0.5, v43
	v_sub_f16_e32 v51, v53, v51
	v_sub_f16_e32 v89, v86, v88
	v_fma_f16 v56, v54, s5, v93
	v_mul_f16_e32 v47, -0.5, v62
	v_fma_f16 v54, v54, s4, v93
	v_fma_f16 v53, v51, s5, v82
	;; [unrolled: 1-line block ×3, first 2 shown]
	v_mul_f16_e32 v51, 0x3aee, v52
	v_fma_f16 v55, v89, s4, v49
	v_fma_f16 v68, v56, s5, v47
	;; [unrolled: 1-line block ×3, first 2 shown]
	v_mul_f16_e32 v49, 0xbaee, v54
	v_fma_f16 v83, v54, 0.5, v51
	v_sub_f16_e32 v47, v55, v68
	v_fma_f16 v57, v52, 0.5, v49
	v_add_f16_e32 v6, v6, v50
	v_sub_f16_e32 v51, v82, v83
	v_add_f16_e32 v52, v55, v68
	v_add_f16_e32 v55, v82, v83
	ds_read_u16 v87, v11 offset:3240
	v_sub_f16_e32 v50, v65, v6
	v_mul_f16_e32 v48, -0.5, v56
	v_add_f16_e32 v43, v43, v86
	v_add_f16_e32 v56, v65, v6
	ds_read_u16 v90, v11 offset:1080
	ds_read_u16 v89, v11 offset:3120
	v_add_f16_e32 v84, v43, v88
	v_add_f16_e32 v43, v63, v64
	v_fma_f16 v62, v62, s4, v48
	v_add_f16_e32 v63, v43, v92
	v_sub_f16_e32 v49, v69, v57
	v_sub_f16_e32 v48, v53, v62
	;; [unrolled: 1-line block ×3, first 2 shown]
	v_add_f16_e32 v54, v69, v57
	s_waitcnt vmcnt(1)
	v_lshrrev_b32_e32 v83, 16, v59
	v_mul_f16_e32 v6, v83, v78
	v_fma_f16 v88, v34, v59, -v6
	v_mov_b32_e32 v6, 0xfffffc7c
	v_mad_u32_u24 v6, v12, 5, v6
	v_add_f16_e32 v53, v53, v62
	v_add_f16_e32 v57, v84, v63
	v_lshlrev_b64 v[62:63], 2, v[6:7]
	v_lshrrev_b32_e32 v84, 16, v60
	v_lshrrev_b32_e32 v86, 16, v61
	v_mul_f16_e32 v59, v59, v78
	v_lshrrev_b32_e32 v82, 16, v58
	v_add_co_u32_e32 v68, vcc, s12, v62
	s_waitcnt lgkmcnt(2)
	v_mul_f16_e32 v6, v86, v87
	v_fma_f16 v34, v34, v83, v59
	v_mul_f16_e32 v59, v61, v87
	v_mul_f16_e32 v87, v84, v70
	ds_read_u16 v85, v11 offset:360
	ds_read_u16 v83, v11 offset:960
	v_addc_co_u32_e32 v69, vcc, v46, v63, vcc
	v_fma_f16 v6, v38, v61, -v6
	v_fma_f16 v38, v38, v86, v59
	s_waitcnt lgkmcnt(3)
	v_mul_f16_e32 v86, v82, v90
	v_fma_f16 v87, v36, v60, -v87
	s_waitcnt vmcnt(0)
	v_lshrrev_b32_e32 v93, 16, v94
	v_mul_f16_e32 v60, v60, v70
	global_load_dwordx4 v[62:65], v[68:69], off offset:1400
	v_fma_f16 v86, v33, v58, -v86
	v_mul_f16_e32 v96, v93, v91
	v_fma_f16 v36, v36, v84, v60
	v_mul_f16_e32 v60, v94, v91
	v_mul_f16_e32 v58, v58, v90
	v_fma_f16 v96, v37, v94, -v96
	v_fma_f16 v37, v37, v93, v60
	v_fma_f16 v58, v33, v82, v58
	global_load_dword v68, v[68:69], off offset:1416
	v_sub_f16_e32 v60, v36, v37
	v_add_f16_e32 v33, v36, v37
	v_add_f16_e32 v36, v58, v36
	;; [unrolled: 1-line block ×5, first 2 shown]
	v_fma_f16 v37, v37, -0.5, v32
	v_add_f16_e32 v32, v32, v88
	v_sub_f16_e32 v92, v88, v6
	v_add_f16_e32 v59, v34, v38
	v_fma_f16 v97, v97, -0.5, v86
	v_sub_f16_e32 v70, v87, v96
	v_fma_f16 v82, v33, -0.5, v58
	v_add_f16_e32 v32, v32, v6
	v_add_f16_e32 v6, v86, v87
	ds_read_u16 v78, v11 offset:240
	s_waitcnt lgkmcnt(2)
	v_fma_f16 v59, v59, -0.5, v85
	v_fma_f16 v69, v60, s5, v97
	v_fma_f16 v84, v70, s4, v82
	;; [unrolled: 1-line block ×4, first 2 shown]
	v_add_f16_e32 v85, v34, v85
	v_sub_f16_e32 v34, v34, v38
	v_add_f16_e32 v86, v6, v96
	v_mov_b32_e32 v6, 0xfffffb50
	v_mul_f16_e32 v82, 0xbaee, v60
	v_add_f16_e32 v85, v38, v85
	v_fma_f16 v38, v34, s5, v37
	v_fma_f16 v34, v34, s4, v37
	v_mul_f16_e32 v37, 0x3aee, v70
	v_mad_u32_u24 v6, v12, 5, v6
	v_fma_f16 v61, v92, s4, v59
	v_fma_f16 v59, v92, s5, v59
	v_fma_f16 v82, v70, 0.5, v82
	v_sub_f16_e32 v92, v85, v36
	v_fma_f16 v70, v60, 0.5, v37
	v_add_f16_e32 v85, v85, v36
	v_lshlrev_b64 v[36:37], 2, v[6:7]
	v_mul_f16_e32 v33, -0.5, v84
	v_mul_f16_e32 v58, -0.5, v69
	v_add_co_u32_e32 v36, vcc, s12, v36
	v_fma_f16 v90, v69, s5, v33
	v_fma_f16 v58, v84, s4, v58
	v_addc_co_u32_e32 v37, vcc, v46, v37, vcc
	v_sub_f16_e32 v33, v61, v90
	v_sub_f16_e32 v91, v59, v82
	;; [unrolled: 1-line block ×3, first 2 shown]
	v_add_f16_e32 v88, v61, v90
	v_add_f16_e32 v82, v59, v82
	;; [unrolled: 1-line block ×3, first 2 shown]
	global_load_dwordx4 v[58:61], v[36:37], off offset:1400
	v_sub_f16_e32 v84, v34, v70
	v_add_f16_e32 v12, v34, v70
	v_sub_f16_e32 v87, v32, v86
	v_add_f16_e32 v32, v32, v86
	global_load_dword v36, v[36:37], off offset:1416
	ds_read_u16 v90, v11 offset:3000
	v_add_co_u32_e32 v8, vcc, s10, v8
	v_pack_b32_f16 v3, v35, v3
	v_pack_b32_f16 v1, v13, v1
	;; [unrolled: 1-line block ×3, first 2 shown]
	s_waitcnt vmcnt(3)
	v_lshrrev_b32_e32 v34, 16, v63
	v_lshrrev_b32_e32 v46, 16, v64
	v_mul_f16_e32 v86, v34, v79
	v_lshrrev_b32_e32 v70, 16, v65
	v_fma_f16 v86, v28, v63, -v86
	v_mul_f16_e32 v63, v63, v79
	v_mul_f16_e32 v37, v46, v71
	v_lshrrev_b32_e32 v6, 16, v62
	v_mul_f16_e32 v93, v70, v89
	s_waitcnt vmcnt(2)
	v_lshrrev_b32_e32 v79, 16, v68
	v_fma_f16 v28, v28, v34, v63
	v_mul_f16_e32 v34, v65, v89
	v_fma_f16 v37, v29, v64, -v37
	v_mul_f16_e32 v89, v79, v95
	v_mul_f16_e32 v64, v64, v71
	v_fma_f16 v93, v30, v65, -v93
	v_fma_f16 v30, v30, v70, v34
	s_waitcnt lgkmcnt(2)
	v_mul_f16_e32 v70, v6, v83
	v_fma_f16 v89, v31, v68, -v89
	v_fma_f16 v29, v29, v46, v64
	v_mul_f16_e32 v46, v68, v95
	v_fma_f16 v70, v27, v62, -v70
	v_add_f16_e32 v96, v37, v89
	v_fma_f16 v31, v31, v79, v46
	v_mul_f16_e32 v62, v62, v83
	v_fma_f16 v96, v96, -0.5, v70
	v_sub_f16_e32 v46, v29, v31
	v_fma_f16 v6, v27, v6, v62
	v_add_f16_e32 v27, v29, v31
	v_fma_f16 v64, v46, s5, v96
	v_sub_f16_e32 v68, v37, v89
	v_fma_f16 v27, v27, -0.5, v6
	v_fma_f16 v46, v46, s4, v96
	v_add_f16_e32 v6, v6, v29
	v_add_f16_e32 v29, v86, v93
	;; [unrolled: 1-line block ×3, first 2 shown]
	v_fma_f16 v62, v68, s4, v27
	v_fma_f16 v27, v68, s5, v27
	v_mul_f16_e32 v68, 0xbaee, v46
	v_fma_f16 v29, v29, -0.5, v26
	v_add_f16_e32 v26, v26, v86
	v_sub_f16_e32 v94, v86, v93
	ds_read_u16 v63, v11 offset:120
	s_waitcnt lgkmcnt(2)
	v_fma_f16 v34, v34, -0.5, v78
	v_mul_f16_e32 v71, -0.5, v62
	v_fma_f16 v68, v27, 0.5, v68
	v_add_f16_e32 v78, v28, v78
	v_sub_f16_e32 v28, v28, v30
	v_mul_f16_e32 v27, 0x3aee, v27
	v_add_f16_e32 v86, v26, v93
	v_add_f16_e32 v26, v70, v37
	v_fma_f16 v65, v94, s4, v34
	v_fma_f16 v71, v64, s5, v71
	;; [unrolled: 1-line block ×3, first 2 shown]
	v_add_f16_e32 v78, v30, v78
	v_fma_f16 v30, v28, s5, v29
	v_mul_f16_e32 v64, -0.5, v64
	v_fma_f16 v94, v28, s4, v29
	v_fma_f16 v46, v46, 0.5, v27
	v_add_f16_e32 v37, v26, v89
	ds_read_u16 v89, v11 offset:2880
	global_load_dwordx4 v[26:29], v[66:67], off offset:1400
	v_fma_f16 v62, v62, s4, v64
	v_add_f16_e32 v6, v6, v31
	v_sub_f16_e32 v64, v30, v62
	v_add_f16_e32 v30, v30, v62
	s_waitcnt vmcnt(2)
	v_lshrrev_b32_e32 v62, 16, v59
	v_sub_f16_e32 v83, v34, v68
	v_sub_f16_e32 v31, v78, v6
	;; [unrolled: 1-line block ×3, first 2 shown]
	v_add_f16_e32 v34, v34, v68
	v_add_f16_e32 v68, v78, v6
	;; [unrolled: 1-line block ×3, first 2 shown]
	v_lshrrev_b32_e32 v78, 16, v61
	v_mul_f16_e32 v86, v62, v80
	v_fma_f16 v86, v23, v59, -v86
	s_waitcnt lgkmcnt(2)
	v_mul_f16_e32 v93, v78, v90
	v_mul_f16_e32 v59, v59, v80
	v_fma_f16 v93, v25, v61, -v93
	v_fma_f16 v23, v23, v62, v59
	v_mul_f16_e32 v59, v61, v90
	global_load_dword v61, v[66:67], off offset:1416
	v_sub_f16_e32 v79, v65, v71
	v_add_f16_e32 v65, v65, v71
	v_lshrrev_b32_e32 v71, 16, v60
	v_fma_f16 v25, v25, v78, v59
	s_waitcnt vmcnt(2)
	v_lshrrev_b32_e32 v78, 16, v36
	v_lshrrev_b32_e32 v6, 16, v58
	v_mul_f16_e32 v67, v71, v72
	v_mul_f16_e32 v80, v78, v74
	;; [unrolled: 1-line block ×3, first 2 shown]
	v_fma_f16 v67, v24, v60, -v67
	v_fma_f16 v80, v22, v36, -v80
	v_mul_f16_e32 v60, v60, v72
	v_mul_f16_e32 v36, v36, v74
	v_fma_f16 v66, v21, v58, -v66
	v_add_f16_e32 v90, v67, v80
	v_fma_f16 v24, v24, v71, v60
	v_fma_f16 v22, v22, v78, v36
	v_mul_f16_e32 v58, v58, v76
	v_fma_f16 v90, v90, -0.5, v66
	v_sub_f16_e32 v36, v24, v22
	v_fma_f16 v6, v21, v6, v58
	v_add_f16_e32 v21, v24, v22
	v_fma_f16 v60, v36, s5, v90
	v_sub_f16_e32 v71, v67, v80
	v_fma_f16 v21, v21, -0.5, v6
	v_fma_f16 v36, v36, s4, v90
	v_add_f16_e32 v59, v23, v25
	v_fma_f16 v58, v71, s4, v21
	v_fma_f16 v21, v71, s5, v21
	v_mul_f16_e32 v71, 0xbaee, v36
	v_add_f16_e32 v6, v6, v24
	v_add_f16_e32 v24, v86, v93
	s_waitcnt lgkmcnt(1)
	v_fma_f16 v59, v59, -0.5, v63
	v_fma_f16 v71, v21, 0.5, v71
	v_add_f16_e32 v63, v23, v63
	v_fma_f16 v24, v24, -0.5, v20
	v_sub_f16_e32 v23, v23, v25
	v_mul_f16_e32 v21, 0x3aee, v21
	v_mul_f16_e32 v72, -0.5, v58
	v_add_f16_e32 v63, v25, v63
	v_fma_f16 v25, v23, s5, v24
	v_fma_f16 v23, v23, s4, v24
	v_fma_f16 v21, v36, 0.5, v21
	v_fma_f16 v72, v60, s5, v72
	v_mul_f16_e32 v60, -0.5, v60
	v_sub_f16_e32 v24, v23, v21
	v_add_f16_e32 v21, v23, v21
	v_sub_f16_e32 v95, v94, v46
	v_add_f16_e32 v46, v94, v46
	v_sub_f16_e32 v94, v86, v93
	v_fma_f16 v58, v58, s4, v60
	v_add_f16_e32 v20, v20, v86
	v_add_f16_e32 v36, v66, v67
	v_fma_f16 v62, v94, s4, v59
	v_fma_f16 v59, v94, s5, v59
	v_sub_f16_e32 v60, v25, v58
	v_add_f16_e32 v20, v20, v93
	v_add_f16_e32 v36, v36, v80
	;; [unrolled: 1-line block ×3, first 2 shown]
	s_waitcnt vmcnt(1)
	v_lshrrev_b32_e32 v23, 16, v27
	v_mul_f16_e32 v67, v23, v81
	v_lshrrev_b32_e32 v58, 16, v29
	v_fma_f16 v67, v19, v27, -v67
	v_mul_f16_e32 v27, v27, v81
	v_sub_f16_e32 v76, v59, v71
	v_sub_f16_e32 v66, v20, v36
	v_add_f16_e32 v59, v59, v71
	v_add_f16_e32 v20, v20, v36
	v_lshrrev_b32_e32 v36, 16, v28
	s_waitcnt lgkmcnt(0)
	v_mul_f16_e32 v71, v58, v89
	v_fma_f16 v19, v19, v23, v27
	v_mul_f16_e32 v23, v29, v89
	ds_read_u16 v11, v11
	v_add_f16_e32 v6, v6, v22
	v_fma_f16 v71, v16, v29, -v71
	v_fma_f16 v16, v16, v58, v23
	v_mul_f16_e32 v58, v36, v73
	v_sub_f16_e32 v22, v63, v6
	v_add_f16_e32 v63, v63, v6
	v_lshrrev_b32_e32 v6, 16, v26
	v_fma_f16 v58, v17, v28, -v58
	s_waitcnt vmcnt(0)
	v_lshrrev_b32_e32 v78, 16, v61
	v_mul_f16_e32 v28, v28, v73
	v_mul_f16_e32 v29, v6, v77
	;; [unrolled: 1-line block ×3, first 2 shown]
	v_fma_f16 v17, v17, v36, v28
	v_mul_f16_e32 v28, v61, v75
	v_fma_f16 v29, v15, v26, -v29
	v_fma_f16 v80, v18, v61, -v80
	v_fma_f16 v18, v18, v78, v28
	v_mul_f16_e32 v26, v26, v77
	v_add_f16_e32 v23, v19, v16
	v_fma_f16 v6, v15, v6, v26
	v_add_f16_e32 v15, v17, v18
	s_waitcnt lgkmcnt(0)
	v_fma_f16 v23, v23, -0.5, v11
	v_fma_f16 v15, v15, -0.5, v6
	v_add_f16_e32 v11, v19, v11
	v_add_f16_e32 v6, v6, v17
	;; [unrolled: 1-line block ×5, first 2 shown]
	v_fma_f16 v81, v81, -0.5, v29
	v_sub_f16_e32 v28, v17, v18
	v_sub_f16_e32 v17, v11, v6
	v_add_f16_e32 v6, v11, v6
	v_lshrrev_b32_e32 v11, 3, v10
	v_fma_f16 v36, v28, s5, v81
	v_sub_f16_e32 v61, v58, v80
	v_fma_f16 v28, v28, s4, v81
	v_mul_hi_u32 v11, v11, s0
	v_fma_f16 v26, v61, s4, v15
	v_fma_f16 v15, v61, s5, v15
	v_mul_f16_e32 v61, 0xbaee, v28
	v_add_f16_e32 v18, v67, v71
	v_fma_f16 v61, v15, 0.5, v61
	v_fma_f16 v18, v18, -0.5, v14
	v_sub_f16_e32 v16, v19, v16
	v_mul_f16_e32 v15, 0x3aee, v15
	v_fma_f16 v19, v16, s5, v18
	v_fma_f16 v16, v16, s4, v18
	v_fma_f16 v15, v28, 0.5, v15
	v_sub_f16_e32 v18, v16, v15
	v_add_f16_e32 v15, v16, v15
	v_lshrrev_b32_e32 v11, 2, v11
	v_mov_b32_e32 v16, s11
	v_mul_u32_u24_e32 v11, 0x168, v11
	v_addc_co_u32_e32 v9, vcc, v16, v9, vcc
	v_add_f16_e32 v14, v14, v67
	v_add_f16_e32 v28, v29, v58
	v_sub_u32_e32 v11, v10, v11
	v_add_co_u32_e32 v8, vcc, v8, v4
	v_sub_f16_e32 v74, v62, v72
	v_add_f16_e32 v62, v62, v72
	v_sub_f16_e32 v72, v67, v71
	v_mul_f16_e32 v73, -0.5, v26
	v_add_f16_e32 v14, v14, v71
	v_add_f16_e32 v28, v28, v80
	v_addc_co_u32_e32 v9, vcc, v9, v5, vcc
	v_lshlrev_b32_e32 v4, 2, v11
	v_fma_f16 v27, v72, s4, v23
	v_fma_f16 v73, v36, s5, v73
	;; [unrolled: 1-line block ×3, first 2 shown]
	v_mul_f16_e32 v36, -0.5, v36
	v_sub_f16_e32 v29, v14, v28
	v_add_f16_e32 v14, v14, v28
	v_add_co_u32_e32 v4, vcc, v8, v4
	v_sub_f16_e32 v72, v23, v61
	v_fma_f16 v26, v26, s4, v36
	v_add_f16_e32 v23, v23, v61
	v_addc_co_u32_e32 v5, vcc, 0, v9, vcc
	v_pack_b32_f16 v6, v14, v6
	v_sub_f16_e32 v75, v27, v73
	v_sub_f16_e32 v36, v19, v26
	v_add_f16_e32 v27, v27, v73
	v_add_f16_e32 v19, v19, v26
	global_store_dword v[4:5], v6, off
	v_pack_b32_f16 v6, v15, v23
	v_add_u32_e32 v11, 60, v10
	global_store_dword v[4:5], v6, off offset:1440
	v_pack_b32_f16 v6, v19, v27
	v_lshrrev_b32_e32 v14, 3, v11
	global_store_dword v[4:5], v6, off offset:2880
	v_add_co_u32_e32 v4, vcc, s1, v4
	v_mul_hi_u32 v14, v14, s0
	v_pack_b32_f16 v6, v29, v17
	v_addc_co_u32_e32 v5, vcc, 0, v5, vcc
	global_store_dword v[4:5], v6, off offset:224
	v_pack_b32_f16 v6, v18, v72
	global_store_dword v[4:5], v6, off offset:1664
	v_pack_b32_f16 v6, v36, v75
	global_store_dword v[4:5], v6, off offset:3104
	v_lshrrev_b32_e32 v4, 2, v14
	v_mul_u32_u24_e32 v5, 0x168, v4
	v_sub_u32_e32 v5, v11, v5
	s_movk_i32 s1, 0x870
	v_mad_u32_u24 v6, v4, s1, v5
	v_lshlrev_b64 v[4:5], 2, v[6:7]
	v_pack_b32_f16 v11, v20, v63
	v_add_co_u32_e32 v4, vcc, v8, v4
	v_addc_co_u32_e32 v5, vcc, v9, v5, vcc
	global_store_dword v[4:5], v11, off
	v_add_u32_e32 v4, 0x168, v6
	v_mov_b32_e32 v5, v7
	v_lshlrev_b64 v[4:5], 2, v[4:5]
	v_pack_b32_f16 v11, v21, v59
	v_add_co_u32_e32 v4, vcc, v8, v4
	v_addc_co_u32_e32 v5, vcc, v9, v5, vcc
	global_store_dword v[4:5], v11, off
	v_add_u32_e32 v4, 0x2d0, v6
	v_mov_b32_e32 v5, v7
	v_lshlrev_b64 v[4:5], 2, v[4:5]
	v_pack_b32_f16 v11, v25, v62
	v_add_co_u32_e32 v4, vcc, v8, v4
	v_addc_co_u32_e32 v5, vcc, v9, v5, vcc
	global_store_dword v[4:5], v11, off
	v_add_u32_e32 v4, 0x438, v6
	v_mov_b32_e32 v5, v7
	v_lshlrev_b64 v[4:5], 2, v[4:5]
	v_pack_b32_f16 v11, v66, v22
	v_add_co_u32_e32 v4, vcc, v8, v4
	v_addc_co_u32_e32 v5, vcc, v9, v5, vcc
	global_store_dword v[4:5], v11, off
	v_add_u32_e32 v4, 0x5a0, v6
	v_mov_b32_e32 v5, v7
	v_lshlrev_b64 v[4:5], 2, v[4:5]
	v_pack_b32_f16 v11, v24, v76
	v_add_co_u32_e32 v4, vcc, v8, v4
	v_addc_co_u32_e32 v5, vcc, v9, v5, vcc
	v_add_u32_e32 v6, 0x708, v6
	global_store_dword v[4:5], v11, off
	v_lshlrev_b64 v[4:5], 2, v[6:7]
	v_add_u32_e32 v6, 0x78, v10
	v_lshrrev_b32_e32 v11, 3, v6
	v_mul_hi_u32 v11, v11, s0
	v_add_co_u32_e32 v4, vcc, v8, v4
	v_addc_co_u32_e32 v5, vcc, v9, v5, vcc
	v_pack_b32_f16 v14, v60, v74
	global_store_dword v[4:5], v14, off
	v_lshrrev_b32_e32 v4, 2, v11
	v_mul_u32_u24_e32 v5, 0x168, v4
	v_sub_u32_e32 v5, v6, v5
	v_mad_u32_u24 v6, v4, s1, v5
	v_lshlrev_b64 v[4:5], 2, v[6:7]
	v_pack_b32_f16 v11, v37, v68
	v_add_co_u32_e32 v4, vcc, v8, v4
	v_addc_co_u32_e32 v5, vcc, v9, v5, vcc
	global_store_dword v[4:5], v11, off
	v_add_u32_e32 v4, 0x168, v6
	v_mov_b32_e32 v5, v7
	v_lshlrev_b64 v[4:5], 2, v[4:5]
	v_pack_b32_f16 v11, v46, v34
	v_add_co_u32_e32 v4, vcc, v8, v4
	v_addc_co_u32_e32 v5, vcc, v9, v5, vcc
	global_store_dword v[4:5], v11, off
	v_add_u32_e32 v4, 0x2d0, v6
	v_mov_b32_e32 v5, v7
	v_lshlrev_b64 v[4:5], 2, v[4:5]
	v_pack_b32_f16 v11, v30, v65
	v_add_co_u32_e32 v4, vcc, v8, v4
	v_addc_co_u32_e32 v5, vcc, v9, v5, vcc
	global_store_dword v[4:5], v11, off
	v_add_u32_e32 v4, 0x438, v6
	v_mov_b32_e32 v5, v7
	v_lshlrev_b64 v[4:5], 2, v[4:5]
	v_pack_b32_f16 v11, v70, v31
	v_add_co_u32_e32 v4, vcc, v8, v4
	v_addc_co_u32_e32 v5, vcc, v9, v5, vcc
	global_store_dword v[4:5], v11, off
	v_add_u32_e32 v4, 0x5a0, v6
	v_mov_b32_e32 v5, v7
	v_lshlrev_b64 v[4:5], 2, v[4:5]
	v_pack_b32_f16 v11, v95, v83
	v_add_co_u32_e32 v4, vcc, v8, v4
	v_addc_co_u32_e32 v5, vcc, v9, v5, vcc
	v_add_u32_e32 v6, 0x708, v6
	global_store_dword v[4:5], v11, off
	v_lshlrev_b64 v[4:5], 2, v[6:7]
	v_add_u32_e32 v6, 0xb4, v10
	v_lshrrev_b32_e32 v11, 3, v6
	v_mul_hi_u32 v11, v11, s0
	v_add_co_u32_e32 v4, vcc, v8, v4
	v_addc_co_u32_e32 v5, vcc, v9, v5, vcc
	v_pack_b32_f16 v14, v64, v79
	global_store_dword v[4:5], v14, off
	v_lshrrev_b32_e32 v4, 2, v11
	v_mul_u32_u24_e32 v5, 0x168, v4
	v_sub_u32_e32 v5, v6, v5
	;; [unrolled: 46-line block ×4, first 2 shown]
	v_mad_u32_u24 v6, v4, s1, v5
	v_lshlrev_b64 v[4:5], 2, v[6:7]
	v_pack_b32_f16 v10, v45, v44
	v_add_co_u32_e32 v4, vcc, v8, v4
	v_addc_co_u32_e32 v5, vcc, v9, v5, vcc
	global_store_dword v[4:5], v10, off
	v_add_u32_e32 v4, 0x168, v6
	v_mov_b32_e32 v5, v7
	v_lshlrev_b64 v[4:5], 2, v[4:5]
	v_pack_b32_f16 v10, v42, v41
	v_add_co_u32_e32 v4, vcc, v8, v4
	v_addc_co_u32_e32 v5, vcc, v9, v5, vcc
	global_store_dword v[4:5], v10, off
	v_add_u32_e32 v4, 0x2d0, v6
	v_mov_b32_e32 v5, v7
	;; [unrolled: 7-line block ×3, first 2 shown]
	v_lshlrev_b64 v[4:5], 2, v[4:5]
	v_add_co_u32_e32 v4, vcc, v8, v4
	v_addc_co_u32_e32 v5, vcc, v9, v5, vcc
	global_store_dword v[4:5], v3, off
	v_add_u32_e32 v3, 0x5a0, v6
	v_mov_b32_e32 v4, v7
	v_lshlrev_b64 v[3:4], 2, v[3:4]
	v_add_u32_e32 v6, 0x708, v6
	v_add_co_u32_e32 v3, vcc, v8, v3
	v_addc_co_u32_e32 v4, vcc, v9, v4, vcc
	global_store_dword v[3:4], v1, off
	v_lshlrev_b64 v[3:4], 2, v[6:7]
	v_add_co_u32_e32 v3, vcc, v8, v3
	v_addc_co_u32_e32 v4, vcc, v9, v4, vcc
	global_store_dword v[3:4], v0, off
.LBB0_21:
	s_endpgm
	.section	.rodata,"a",@progbits
	.p2align	6, 0x0
	.amdhsa_kernel fft_rtc_fwd_len2160_factors_10_6_6_6_wgs_60_tpt_60_halfLds_half_op_CI_CI_unitstride_sbrr_dirReg
		.amdhsa_group_segment_fixed_size 0
		.amdhsa_private_segment_fixed_size 0
		.amdhsa_kernarg_size 104
		.amdhsa_user_sgpr_count 6
		.amdhsa_user_sgpr_private_segment_buffer 1
		.amdhsa_user_sgpr_dispatch_ptr 0
		.amdhsa_user_sgpr_queue_ptr 0
		.amdhsa_user_sgpr_kernarg_segment_ptr 1
		.amdhsa_user_sgpr_dispatch_id 0
		.amdhsa_user_sgpr_flat_scratch_init 0
		.amdhsa_user_sgpr_private_segment_size 0
		.amdhsa_uses_dynamic_stack 0
		.amdhsa_system_sgpr_private_segment_wavefront_offset 0
		.amdhsa_system_sgpr_workgroup_id_x 1
		.amdhsa_system_sgpr_workgroup_id_y 0
		.amdhsa_system_sgpr_workgroup_id_z 0
		.amdhsa_system_sgpr_workgroup_info 0
		.amdhsa_system_vgpr_workitem_id 0
		.amdhsa_next_free_vgpr 120
		.amdhsa_next_free_sgpr 28
		.amdhsa_reserve_vcc 1
		.amdhsa_reserve_flat_scratch 0
		.amdhsa_float_round_mode_32 0
		.amdhsa_float_round_mode_16_64 0
		.amdhsa_float_denorm_mode_32 3
		.amdhsa_float_denorm_mode_16_64 3
		.amdhsa_dx10_clamp 1
		.amdhsa_ieee_mode 1
		.amdhsa_fp16_overflow 0
		.amdhsa_exception_fp_ieee_invalid_op 0
		.amdhsa_exception_fp_denorm_src 0
		.amdhsa_exception_fp_ieee_div_zero 0
		.amdhsa_exception_fp_ieee_overflow 0
		.amdhsa_exception_fp_ieee_underflow 0
		.amdhsa_exception_fp_ieee_inexact 0
		.amdhsa_exception_int_div_zero 0
	.end_amdhsa_kernel
	.text
.Lfunc_end0:
	.size	fft_rtc_fwd_len2160_factors_10_6_6_6_wgs_60_tpt_60_halfLds_half_op_CI_CI_unitstride_sbrr_dirReg, .Lfunc_end0-fft_rtc_fwd_len2160_factors_10_6_6_6_wgs_60_tpt_60_halfLds_half_op_CI_CI_unitstride_sbrr_dirReg
                                        ; -- End function
	.section	.AMDGPU.csdata,"",@progbits
; Kernel info:
; codeLenInByte = 19488
; NumSgprs: 32
; NumVgprs: 120
; ScratchSize: 0
; MemoryBound: 0
; FloatMode: 240
; IeeeMode: 1
; LDSByteSize: 0 bytes/workgroup (compile time only)
; SGPRBlocks: 3
; VGPRBlocks: 29
; NumSGPRsForWavesPerEU: 32
; NumVGPRsForWavesPerEU: 120
; Occupancy: 2
; WaveLimiterHint : 1
; COMPUTE_PGM_RSRC2:SCRATCH_EN: 0
; COMPUTE_PGM_RSRC2:USER_SGPR: 6
; COMPUTE_PGM_RSRC2:TRAP_HANDLER: 0
; COMPUTE_PGM_RSRC2:TGID_X_EN: 1
; COMPUTE_PGM_RSRC2:TGID_Y_EN: 0
; COMPUTE_PGM_RSRC2:TGID_Z_EN: 0
; COMPUTE_PGM_RSRC2:TIDIG_COMP_CNT: 0
	.type	__hip_cuid_ded05ea27b632f2e,@object ; @__hip_cuid_ded05ea27b632f2e
	.section	.bss,"aw",@nobits
	.globl	__hip_cuid_ded05ea27b632f2e
__hip_cuid_ded05ea27b632f2e:
	.byte	0                               ; 0x0
	.size	__hip_cuid_ded05ea27b632f2e, 1

	.ident	"AMD clang version 19.0.0git (https://github.com/RadeonOpenCompute/llvm-project roc-6.4.0 25133 c7fe45cf4b819c5991fe208aaa96edf142730f1d)"
	.section	".note.GNU-stack","",@progbits
	.addrsig
	.addrsig_sym __hip_cuid_ded05ea27b632f2e
	.amdgpu_metadata
---
amdhsa.kernels:
  - .args:
      - .actual_access:  read_only
        .address_space:  global
        .offset:         0
        .size:           8
        .value_kind:     global_buffer
      - .offset:         8
        .size:           8
        .value_kind:     by_value
      - .actual_access:  read_only
        .address_space:  global
        .offset:         16
        .size:           8
        .value_kind:     global_buffer
      - .actual_access:  read_only
        .address_space:  global
        .offset:         24
        .size:           8
        .value_kind:     global_buffer
      - .actual_access:  read_only
        .address_space:  global
        .offset:         32
        .size:           8
        .value_kind:     global_buffer
      - .offset:         40
        .size:           8
        .value_kind:     by_value
      - .actual_access:  read_only
        .address_space:  global
        .offset:         48
        .size:           8
        .value_kind:     global_buffer
      - .actual_access:  read_only
        .address_space:  global
        .offset:         56
        .size:           8
        .value_kind:     global_buffer
      - .offset:         64
        .size:           4
        .value_kind:     by_value
      - .actual_access:  read_only
        .address_space:  global
        .offset:         72
        .size:           8
        .value_kind:     global_buffer
      - .actual_access:  read_only
        .address_space:  global
        .offset:         80
        .size:           8
        .value_kind:     global_buffer
      - .actual_access:  read_only
        .address_space:  global
        .offset:         88
        .size:           8
        .value_kind:     global_buffer
      - .actual_access:  write_only
        .address_space:  global
        .offset:         96
        .size:           8
        .value_kind:     global_buffer
    .group_segment_fixed_size: 0
    .kernarg_segment_align: 8
    .kernarg_segment_size: 104
    .language:       OpenCL C
    .language_version:
      - 2
      - 0
    .max_flat_workgroup_size: 60
    .name:           fft_rtc_fwd_len2160_factors_10_6_6_6_wgs_60_tpt_60_halfLds_half_op_CI_CI_unitstride_sbrr_dirReg
    .private_segment_fixed_size: 0
    .sgpr_count:     32
    .sgpr_spill_count: 0
    .symbol:         fft_rtc_fwd_len2160_factors_10_6_6_6_wgs_60_tpt_60_halfLds_half_op_CI_CI_unitstride_sbrr_dirReg.kd
    .uniform_work_group_size: 1
    .uses_dynamic_stack: false
    .vgpr_count:     120
    .vgpr_spill_count: 0
    .wavefront_size: 64
amdhsa.target:   amdgcn-amd-amdhsa--gfx906
amdhsa.version:
  - 1
  - 2
...

	.end_amdgpu_metadata
